;; amdgpu-corpus repo=ROCm/rocFFT kind=compiled arch=gfx950 opt=O3
	.text
	.amdgcn_target "amdgcn-amd-amdhsa--gfx950"
	.amdhsa_code_object_version 6
	.protected	bluestein_single_fwd_len1734_dim1_dp_op_CI_CI ; -- Begin function bluestein_single_fwd_len1734_dim1_dp_op_CI_CI
	.globl	bluestein_single_fwd_len1734_dim1_dp_op_CI_CI
	.p2align	8
	.type	bluestein_single_fwd_len1734_dim1_dp_op_CI_CI,@function
bluestein_single_fwd_len1734_dim1_dp_op_CI_CI: ; @bluestein_single_fwd_len1734_dim1_dp_op_CI_CI
; %bb.0:
	s_load_dwordx4 s[12:15], s[0:1], 0x28
	v_mul_u32_u24_e32 v1, 0x283, v0
	v_add_u32_sdwa v8, s2, v1 dst_sel:DWORD dst_unused:UNUSED_PAD src0_sel:DWORD src1_sel:WORD_1
	v_mov_b32_e32 v9, 0
	s_waitcnt lgkmcnt(0)
	v_cmp_gt_u64_e32 vcc, s[12:13], v[8:9]
	s_and_saveexec_b64 s[2:3], vcc
	s_cbranch_execz .LBB0_10
; %bb.1:
	s_load_dwordx4 s[4:7], s[0:1], 0x18
	s_load_dwordx4 s[8:11], s[0:1], 0x0
	v_mov_b32_e32 v2, s14
	v_mov_b32_e32 v3, s15
	s_movk_i32 s2, 0x66
	s_waitcnt lgkmcnt(0)
	s_load_dwordx4 s[12:15], s[4:5], 0x0
	v_mul_lo_u16_sdwa v1, v1, s2 dst_sel:DWORD dst_unused:UNUSED_PAD src0_sel:WORD_1 src1_sel:DWORD
	v_sub_u16_e32 v44, v0, v1
	s_movk_i32 s33, 0x1000
	v_accvgpr_write_b32 a2, v8
	s_waitcnt lgkmcnt(0)
	v_mad_u64_u32 v[0:1], s[2:3], s14, v8, 0
	v_mov_b32_e32 v4, v1
	v_mad_u64_u32 v[4:5], s[2:3], s15, v8, v[4:5]
	v_mov_b32_e32 v1, v4
	v_mad_u64_u32 v[4:5], s[2:3], s12, v44, 0
	v_mov_b32_e32 v6, v5
	v_mad_u64_u32 v[6:7], s[2:3], s13, v44, v[6:7]
	v_mov_b32_e32 v5, v6
	v_lshl_add_u64 v[0:1], v[0:1], 4, v[2:3]
	v_lshl_add_u64 v[2:3], v[4:5], 4, v[0:1]
	v_lshlrev_b32_e32 v0, 4, v44
	v_mov_b32_e32 v1, v9
	v_lshl_add_u64 v[4:5], s[8:9], 0, v[0:1]
	v_add_co_u32_e32 v8, vcc, s33, v4
	s_movk_i32 s2, 0x2000
	s_nop 0
	v_addc_co_u32_e32 v9, vcc, 0, v5, vcc
	v_mov_b32_e32 v6, 0x660
	v_add_co_u32_e32 v10, vcc, s2, v4
	global_load_dwordx4 v[68:71], v[2:3], off
	global_load_dwordx4 v[22:25], v0, s[8:9]
	s_movk_i32 s60, 0x3000
	v_addc_co_u32_e32 v11, vcc, 0, v5, vcc
	s_mul_i32 s2, s13, 0x660
	v_mad_u64_u32 v[2:3], s[14:15], s12, v6, v[2:3]
	v_add_co_u32_e32 v12, vcc, s60, v4
	v_add_u32_e32 v3, s2, v3
	s_load_dwordx4 s[4:7], s[6:7], 0x0
	global_load_dwordx4 v[152:155], v0, s[8:9] offset:1632
	global_load_dwordx4 v[144:147], v0, s[8:9] offset:3264
	v_addc_co_u32_e32 v13, vcc, 0, v5, vcc
	global_load_dwordx4 v[140:143], v[8:9], off offset:800
	global_load_dwordx4 v[58:61], v[8:9], off offset:2432
	global_load_dwordx4 v[50:53], v[8:9], off offset:4064
	global_load_dwordx4 v[46:49], v[10:11], off offset:1600
	global_load_dwordx4 v[38:41], v[10:11], off offset:3232
	global_load_dwordx4 v[26:29], v[12:13], off offset:768
	global_load_dwordx4 v[34:37], v[12:13], off offset:2400
	global_load_dwordx4 v[30:33], v[12:13], off offset:4032
	v_mad_u64_u32 v[8:9], s[14:15], s12, v6, v[2:3]
	v_add_u32_e32 v9, s2, v9
	global_load_dwordx4 v[108:111], v[2:3], off
	global_load_dwordx4 v[100:103], v[8:9], off
	v_mad_u64_u32 v[2:3], s[14:15], s12, v6, v[8:9]
	v_add_u32_e32 v3, s2, v3
	v_mad_u64_u32 v[8:9], s[14:15], s12, v6, v[2:3]
	v_add_u32_e32 v9, s2, v9
	global_load_dwordx4 v[104:107], v[2:3], off
	global_load_dwordx4 v[96:99], v[8:9], off
	v_mad_u64_u32 v[2:3], s[14:15], s12, v6, v[8:9]
	v_add_u32_e32 v3, s2, v3
	global_load_dwordx4 v[92:95], v[2:3], off
	v_mad_u64_u32 v[2:3], s[14:15], s12, v6, v[2:3]
	v_add_u32_e32 v3, s2, v3
	;; [unrolled: 3-line block ×7, first 2 shown]
	global_load_dwordx4 v[8:11], v[2:3], off
	s_movk_i32 s3, 0x4000
	v_mad_u64_u32 v[2:3], s[14:15], s12, v6, v[2:3]
	v_add_co_u32_e32 v16, vcc, s3, v4
	v_add_u32_e32 v3, s2, v3
	s_nop 0
	v_addc_co_u32_e32 v17, vcc, 0, v5, vcc
	global_load_dwordx4 v[12:15], v[2:3], off
	global_load_dwordx4 v[132:135], v[16:17], off offset:1568
	global_load_dwordx4 v[54:57], v[16:17], off offset:3200
	v_mad_u64_u32 v[2:3], s[14:15], s12, v6, v[2:3]
	v_add_u32_e32 v3, s2, v3
	global_load_dwordx4 v[16:19], v[2:3], off
	s_movk_i32 s3, 0x5000
	v_mad_u64_u32 v[2:3], s[14:15], s12, v6, v[2:3]
	v_add_co_u32_e32 v20, vcc, s3, v4
	v_add_u32_e32 v3, s2, v3
	s_nop 0
	v_addc_co_u32_e32 v21, vcc, 0, v5, vcc
	global_load_dwordx4 v[116:119], v[2:3], off
	global_load_dwordx4 v[148:151], v[20:21], off offset:736
	global_load_dwordx4 v[62:65], v[20:21], off offset:2368
	v_mad_u64_u32 v[2:3], s[14:15], s12, v6, v[2:3]
	v_add_u32_e32 v3, s2, v3
	global_load_dwordx4 v[120:123], v[2:3], off
	global_load_dwordx4 v[128:131], v[20:21], off offset:4000
	v_mad_u64_u32 v[2:3], s[12:13], s12, v6, v[2:3]
	v_add_u32_e32 v3, s2, v3
	s_movk_i32 s2, 0x6000
	global_load_dwordx4 v[124:127], v[2:3], off
	v_add_co_u32_e32 v2, vcc, s2, v4
	s_waitcnt vmcnt(31)
	v_mul_f64 v[112:113], v[70:71], v[24:25]
	v_addc_co_u32_e32 v3, vcc, 0, v5, vcc
	global_load_dwordx4 v[136:139], v[2:3], off offset:1536
	v_mul_f64 v[2:3], v[68:69], v[24:25]
	v_fma_f64 v[114:115], v[70:71], v[22:23], -v[2:3]
	v_fmac_f64_e32 v[112:113], v[68:69], v[22:23]
	ds_write_b128 v0, v[112:115]
	s_mov_b32 s38, 0x5d8e7cdc
	s_mov_b32 s50, 0x2a9d6da3
	s_waitcnt vmcnt(21)
	v_mul_f64 v[2:3], v[110:111], v[154:155]
	v_mul_f64 v[4:5], v[108:109], v[154:155]
	v_fmac_f64_e32 v[2:3], v[108:109], v[152:153]
	v_fma_f64 v[4:5], v[110:111], v[152:153], -v[4:5]
	ds_write_b128 v0, v[2:5] offset:1632
	s_waitcnt vmcnt(20)
	v_mul_f64 v[2:3], v[102:103], v[146:147]
	v_mul_f64 v[4:5], v[100:101], v[146:147]
	v_fmac_f64_e32 v[2:3], v[100:101], v[144:145]
	v_fma_f64 v[4:5], v[102:103], v[144:145], -v[4:5]
	ds_write_b128 v0, v[2:5] offset:3264
	;; [unrolled: 6-line block ×15, first 2 shown]
	s_waitcnt vmcnt(0)
	v_mul_f64 v[2:3], v[126:127], v[138:139]
	v_mul_f64 v[4:5], v[124:125], v[138:139]
	v_accvgpr_write_b32 a44, v128
	v_fmac_f64_e32 v[2:3], v[124:125], v[136:137]
	v_fma_f64 v[4:5], v[126:127], v[136:137], -v[4:5]
	v_accvgpr_write_b32 a45, v129
	v_accvgpr_write_b32 a46, v130
	;; [unrolled: 1-line block ×3, first 2 shown]
	ds_write_b128 v0, v[2:5] offset:26112
	s_waitcnt lgkmcnt(0)
	s_barrier
	ds_read_b128 v[124:127], v0
	ds_read_b128 v[2:5], v0 offset:1632
	ds_read_b128 v[120:123], v0 offset:3264
	;; [unrolled: 1-line block ×16, first 2 shown]
	s_waitcnt lgkmcnt(14)
	v_add_f64 v[10:11], v[124:125], v[2:3]
	v_add_f64 v[12:13], v[126:127], v[4:5]
	v_add_f64 v[10:11], v[10:11], v[120:121]
	v_add_f64 v[12:13], v[12:13], v[122:123]
	s_waitcnt lgkmcnt(13)
	v_add_f64 v[10:11], v[10:11], v[112:113]
	v_add_f64 v[12:13], v[12:13], v[114:115]
	s_waitcnt lgkmcnt(12)
	v_add_f64 v[10:11], v[10:11], v[104:105]
	v_add_f64 v[12:13], v[12:13], v[106:107]
	;; [unrolled: 3-line block ×13, first 2 shown]
	s_mov_b32 s2, 0x7c9e640b
	s_mov_b32 s42, 0xeb564b22
	;; [unrolled: 1-line block ×6, first 2 shown]
	v_accvgpr_write_b32 a4, v22
	v_accvgpr_write_b32 a60, v144
	v_accvgpr_write_b32 a56, v140
	v_accvgpr_write_b32 a20, v38
	v_accvgpr_write_b32 a8, v26
	v_accvgpr_write_b32 a16, v34
	v_accvgpr_write_b32 a12, v30
	v_accvgpr_write_b32 a48, v132
	v_accvgpr_write_b32 a64, v148
	v_accvgpr_write_b32 a52, v136
	s_waitcnt lgkmcnt(0)
	v_add_f64 v[68:69], v[10:11], v[6:7]
	v_add_f64 v[70:71], v[12:13], v[8:9]
	;; [unrolled: 1-line block ×4, first 2 shown]
	v_add_f64 v[2:3], v[2:3], -v[6:7]
	v_add_f64 v[4:5], v[4:5], -v[8:9]
	s_mov_b32 s39, 0xbfd71e95
	s_mov_b32 s26, 0x370991
	;; [unrolled: 1-line block ×16, first 2 shown]
	v_accvgpr_write_b32 a5, v23
	v_accvgpr_write_b32 a6, v24
	v_accvgpr_write_b32 a7, v25
	v_accvgpr_write_b32 a68, v152
	v_accvgpr_write_b32 a61, v145
	v_accvgpr_write_b32 a62, v146
	v_accvgpr_write_b32 a63, v147
	v_accvgpr_write_b32 a57, v141
	v_accvgpr_write_b32 a58, v142
	v_accvgpr_write_b32 a59, v143
	v_accvgpr_write_b32 a21, v39
	v_accvgpr_write_b32 a22, v40
	v_accvgpr_write_b32 a23, v41
	v_accvgpr_write_b32 a9, v27
	v_accvgpr_write_b32 a10, v28
	v_accvgpr_write_b32 a11, v29
	v_accvgpr_write_b32 a17, v35
	v_accvgpr_write_b32 a18, v36
	v_accvgpr_write_b32 a19, v37
	v_accvgpr_write_b32 a13, v31
	v_accvgpr_write_b32 a14, v32
	v_accvgpr_write_b32 a15, v33
	v_accvgpr_write_b32 a49, v133
	v_accvgpr_write_b32 a50, v134
	v_accvgpr_write_b32 a51, v135
	v_accvgpr_write_b32 a65, v149
	v_accvgpr_write_b32 a66, v150
	v_accvgpr_write_b32 a67, v151
	v_accvgpr_write_b32 a53, v137
	v_accvgpr_write_b32 a54, v138
	v_accvgpr_write_b32 a55, v139
	v_mul_f64 v[6:7], v[4:5], s[38:39]
	s_mov_b32 s27, 0x3fedd6d0
	v_mul_f64 v[14:15], v[2:3], s[38:39]
	v_mul_f64 v[18:19], v[4:5], s[50:51]
	s_mov_b32 s23, 0x3fe7a5f6
	v_mul_f64 v[22:23], v[2:3], s[50:51]
	;; [unrolled: 3-line block ×8, first 2 shown]
	v_accvgpr_write_b32 a69, v153
	v_accvgpr_write_b32 a70, v154
	;; [unrolled: 1-line block ×3, first 2 shown]
	v_fma_f64 v[8:9], v[10:11], s[26:27], -v[6:7]
	v_fma_f64 v[16:17], s[26:27], v[12:13], v[14:15]
	v_fmac_f64_e32 v[6:7], s[26:27], v[10:11]
	v_fma_f64 v[14:15], v[12:13], s[26:27], -v[14:15]
	v_fma_f64 v[20:21], v[10:11], s[22:23], -v[18:19]
	v_fma_f64 v[24:25], s[22:23], v[12:13], v[22:23]
	v_fmac_f64_e32 v[18:19], s[22:23], v[10:11]
	v_fma_f64 v[22:23], v[12:13], s[22:23], -v[22:23]
	;; [unrolled: 4-line block ×8, first 2 shown]
	v_add_f64 v[12:13], v[122:123], v[130:131]
	v_add_f64 v[122:123], v[122:123], -v[130:131]
	v_add_f64 v[8:9], v[124:125], v[8:9]
	v_add_f64 v[6:7], v[124:125], v[6:7]
	v_add_f64 v[20:21], v[124:125], v[20:21]
	v_add_f64 v[18:19], v[124:125], v[18:19]
	v_add_f64 v[28:29], v[124:125], v[28:29]
	v_add_f64 v[26:27], v[124:125], v[26:27]
	v_add_f64 v[36:37], v[124:125], v[36:37]
	v_add_f64 v[34:35], v[124:125], v[34:35]
	v_add_f64 v[132:133], v[124:125], v[132:133]
	v_add_f64 v[42:43], v[124:125], v[42:43]
	v_add_f64 v[140:141], v[124:125], v[140:141]
	v_add_f64 v[138:139], v[124:125], v[138:139]
	v_add_f64 v[148:149], v[124:125], v[148:149]
	v_add_f64 v[146:147], v[124:125], v[146:147]
	v_add_f64 v[154:155], v[124:125], v[154:155]
	v_add_f64 v[4:5], v[124:125], v[4:5]
	v_add_f64 v[10:11], v[120:121], v[128:129]
	v_mul_f64 v[124:125], v[122:123], s[50:51]
	v_add_f64 v[16:17], v[126:127], v[16:17]
	v_add_f64 v[14:15], v[126:127], v[14:15]
	;; [unrolled: 1-line block ×16, first 2 shown]
	v_add_f64 v[120:121], v[120:121], -v[128:129]
	v_fma_f64 v[126:127], v[10:11], s[22:23], -v[124:125]
	v_add_f64 v[8:9], v[126:127], v[8:9]
	v_mul_f64 v[126:127], v[120:121], s[50:51]
	v_fmac_f64_e32 v[124:125], s[22:23], v[10:11]
	v_add_f64 v[6:7], v[124:125], v[6:7]
	v_fma_f64 v[124:125], v[12:13], s[22:23], -v[126:127]
	v_add_f64 v[14:15], v[124:125], v[14:15]
	v_mul_f64 v[124:125], v[122:123], s[42:43]
	v_fma_f64 v[128:129], s[22:23], v[12:13], v[126:127]
	v_fma_f64 v[126:127], v[10:11], s[12:13], -v[124:125]
	v_add_f64 v[20:21], v[126:127], v[20:21]
	v_mul_f64 v[126:127], v[120:121], s[42:43]
	v_fmac_f64_e32 v[124:125], s[12:13], v[10:11]
	v_add_f64 v[18:19], v[124:125], v[18:19]
	v_fma_f64 v[124:125], v[12:13], s[12:13], -v[126:127]
	v_add_f64 v[22:23], v[124:125], v[22:23]
	v_mul_f64 v[124:125], v[122:123], s[24:25]
	v_add_f64 v[16:17], v[128:129], v[16:17]
	v_fma_f64 v[128:129], s[12:13], v[12:13], v[126:127]
	v_fma_f64 v[126:127], v[10:11], s[20:21], -v[124:125]
	v_add_f64 v[28:29], v[126:127], v[28:29]
	v_mul_f64 v[126:127], v[120:121], s[24:25]
	v_fmac_f64_e32 v[124:125], s[20:21], v[10:11]
	v_add_f64 v[26:27], v[124:125], v[26:27]
	v_fma_f64 v[124:125], v[12:13], s[20:21], -v[126:127]
	v_add_f64 v[30:31], v[124:125], v[30:31]
	v_mul_f64 v[124:125], v[122:123], s[40:41]
	v_add_f64 v[24:25], v[128:129], v[24:25]
	v_fma_f64 v[128:129], s[20:21], v[12:13], v[126:127]
	v_fma_f64 v[126:127], v[10:11], s[36:37], -v[124:125]
	v_add_f64 v[36:37], v[126:127], v[36:37]
	v_mul_f64 v[126:127], v[120:121], s[40:41]
	v_fmac_f64_e32 v[124:125], s[36:37], v[10:11]
	v_add_f64 v[34:35], v[124:125], v[34:35]
	v_fma_f64 v[124:125], v[12:13], s[36:37], -v[126:127]
	s_mov_b32 s55, 0x3fe0d888
	s_mov_b32 s54, s34
	v_add_f64 v[32:33], v[128:129], v[32:33]
	v_fma_f64 v[128:129], s[36:37], v[12:13], v[126:127]
	v_add_f64 v[38:39], v[124:125], v[38:39]
	v_mul_f64 v[124:125], v[122:123], s[54:55]
	v_add_f64 v[40:41], v[128:129], v[40:41]
	v_fma_f64 v[126:127], v[10:11], s[30:31], -v[124:125]
	v_mul_f64 v[128:129], v[120:121], s[54:55]
	v_fmac_f64_e32 v[124:125], s[30:31], v[10:11]
	s_mov_b32 s53, 0x3feec746
	s_mov_b32 s52, s16
	v_fma_f64 v[130:131], s[30:31], v[12:13], v[128:129]
	v_add_f64 v[42:43], v[124:125], v[42:43]
	v_fma_f64 v[124:125], v[12:13], s[30:31], -v[128:129]
	v_mul_f64 v[128:129], v[122:123], s[52:53]
	v_add_f64 v[126:127], v[126:127], v[132:133]
	v_add_f64 v[124:125], v[124:125], v[134:135]
	v_fma_f64 v[132:133], v[10:11], s[14:15], -v[128:129]
	v_mul_f64 v[134:135], v[120:121], s[52:53]
	v_fmac_f64_e32 v[128:129], s[14:15], v[10:11]
	s_mov_b32 s29, 0x3feca52d
	s_mov_b32 s28, s2
	v_add_f64 v[130:131], v[130:131], v[136:137]
	v_fma_f64 v[136:137], s[14:15], v[12:13], v[134:135]
	v_add_f64 v[128:129], v[128:129], v[138:139]
	v_fma_f64 v[134:135], v[12:13], s[14:15], -v[134:135]
	v_mul_f64 v[138:139], v[122:123], s[28:29]
	s_mov_b32 s45, 0x3fd71e95
	s_mov_b32 s44, s38
	v_add_f64 v[132:133], v[132:133], v[140:141]
	v_add_f64 v[134:135], v[134:135], v[142:143]
	v_fma_f64 v[140:141], v[10:11], s[18:19], -v[138:139]
	v_mul_f64 v[142:143], v[120:121], s[28:29]
	v_fmac_f64_e32 v[138:139], s[18:19], v[10:11]
	v_mul_f64 v[122:123], v[122:123], s[44:45]
	v_mul_f64 v[120:121], v[120:121], s[44:45]
	v_add_f64 v[136:137], v[136:137], v[144:145]
	v_add_f64 v[140:141], v[140:141], v[148:149]
	v_fma_f64 v[144:145], s[18:19], v[12:13], v[142:143]
	v_add_f64 v[138:139], v[138:139], v[146:147]
	v_fma_f64 v[142:143], v[12:13], s[18:19], -v[142:143]
	v_fma_f64 v[146:147], v[10:11], s[26:27], -v[122:123]
	v_fma_f64 v[148:149], s[26:27], v[12:13], v[120:121]
	v_fmac_f64_e32 v[122:123], s[26:27], v[10:11]
	v_fma_f64 v[10:11], v[12:13], s[26:27], -v[120:121]
	v_add_f64 v[12:13], v[114:115], v[118:119]
	v_add_f64 v[114:115], v[114:115], -v[118:119]
	v_add_f64 v[2:3], v[10:11], v[2:3]
	v_add_f64 v[10:11], v[112:113], v[116:117]
	v_add_f64 v[112:113], v[112:113], -v[116:117]
	v_mul_f64 v[116:117], v[114:115], s[2:3]
	v_fma_f64 v[118:119], v[10:11], s[18:19], -v[116:117]
	v_add_f64 v[8:9], v[118:119], v[8:9]
	v_mul_f64 v[118:119], v[112:113], s[2:3]
	v_fmac_f64_e32 v[116:117], s[18:19], v[10:11]
	v_add_f64 v[6:7], v[116:117], v[6:7]
	v_fma_f64 v[116:117], v[12:13], s[18:19], -v[118:119]
	v_add_f64 v[14:15], v[116:117], v[14:15]
	v_mul_f64 v[116:117], v[114:115], s[24:25]
	v_fma_f64 v[120:121], s[18:19], v[12:13], v[118:119]
	v_fma_f64 v[118:119], v[10:11], s[20:21], -v[116:117]
	v_add_f64 v[20:21], v[118:119], v[20:21]
	v_mul_f64 v[118:119], v[112:113], s[24:25]
	v_fmac_f64_e32 v[116:117], s[20:21], v[10:11]
	v_add_f64 v[18:19], v[116:117], v[18:19]
	v_fma_f64 v[116:117], v[12:13], s[20:21], -v[118:119]
	s_mov_b32 s59, 0x3fc7851a
	s_mov_b32 s58, s40
	v_add_f64 v[22:23], v[116:117], v[22:23]
	v_mul_f64 v[116:117], v[114:115], s[58:59]
	v_add_f64 v[16:17], v[120:121], v[16:17]
	v_fma_f64 v[120:121], s[20:21], v[12:13], v[118:119]
	v_fma_f64 v[118:119], v[10:11], s[36:37], -v[116:117]
	v_add_f64 v[28:29], v[118:119], v[28:29]
	v_mul_f64 v[118:119], v[112:113], s[58:59]
	v_fmac_f64_e32 v[116:117], s[36:37], v[10:11]
	v_add_f64 v[26:27], v[116:117], v[26:27]
	v_fma_f64 v[116:117], v[12:13], s[36:37], -v[118:119]
	v_add_f64 v[30:31], v[116:117], v[30:31]
	v_mul_f64 v[116:117], v[114:115], s[52:53]
	v_add_f64 v[24:25], v[120:121], v[24:25]
	v_fma_f64 v[120:121], s[36:37], v[12:13], v[118:119]
	v_fma_f64 v[118:119], v[10:11], s[14:15], -v[116:117]
	v_add_f64 v[36:37], v[118:119], v[36:37]
	v_mul_f64 v[118:119], v[112:113], s[52:53]
	v_fmac_f64_e32 v[116:117], s[14:15], v[10:11]
	v_add_f64 v[34:35], v[116:117], v[34:35]
	v_fma_f64 v[116:117], v[12:13], s[14:15], -v[118:119]
	s_mov_b32 s47, 0x3fe58eea
	s_mov_b32 s46, s50
	v_add_f64 v[32:33], v[120:121], v[32:33]
	v_fma_f64 v[120:121], s[14:15], v[12:13], v[118:119]
	v_add_f64 v[38:39], v[116:117], v[38:39]
	v_mul_f64 v[116:117], v[114:115], s[46:47]
	v_add_f64 v[40:41], v[120:121], v[40:41]
	v_fma_f64 v[118:119], v[10:11], s[22:23], -v[116:117]
	v_mul_f64 v[120:121], v[112:113], s[46:47]
	v_fmac_f64_e32 v[116:117], s[22:23], v[10:11]
	v_add_f64 v[4:5], v[122:123], v[4:5]
	v_fma_f64 v[122:123], s[22:23], v[12:13], v[120:121]
	v_add_f64 v[42:43], v[116:117], v[42:43]
	v_fma_f64 v[116:117], v[12:13], s[22:23], -v[120:121]
	v_mul_f64 v[120:121], v[114:115], s[38:39]
	v_add_f64 v[118:119], v[118:119], v[126:127]
	v_add_f64 v[116:117], v[116:117], v[124:125]
	v_fma_f64 v[124:125], v[10:11], s[26:27], -v[120:121]
	v_mul_f64 v[126:127], v[112:113], s[38:39]
	v_fmac_f64_e32 v[120:121], s[26:27], v[10:11]
	v_add_f64 v[122:123], v[122:123], v[130:131]
	v_fma_f64 v[130:131], s[26:27], v[12:13], v[126:127]
	v_add_f64 v[120:121], v[120:121], v[128:129]
	v_fma_f64 v[126:127], v[12:13], s[26:27], -v[126:127]
	v_mul_f64 v[128:129], v[114:115], s[42:43]
	v_add_f64 v[124:125], v[124:125], v[132:133]
	v_add_f64 v[126:127], v[126:127], v[134:135]
	v_fma_f64 v[132:133], v[10:11], s[12:13], -v[128:129]
	v_mul_f64 v[134:135], v[112:113], s[42:43]
	v_fmac_f64_e32 v[128:129], s[12:13], v[10:11]
	v_mul_f64 v[114:115], v[114:115], s[34:35]
	v_mul_f64 v[112:113], v[112:113], s[34:35]
	v_add_f64 v[130:131], v[130:131], v[136:137]
	v_add_f64 v[132:133], v[132:133], v[140:141]
	v_fma_f64 v[136:137], s[12:13], v[12:13], v[134:135]
	v_add_f64 v[128:129], v[128:129], v[138:139]
	v_fma_f64 v[134:135], v[12:13], s[12:13], -v[134:135]
	v_fma_f64 v[138:139], v[10:11], s[30:31], -v[114:115]
	v_fma_f64 v[140:141], s[30:31], v[12:13], v[112:113]
	v_fmac_f64_e32 v[114:115], s[30:31], v[10:11]
	v_fma_f64 v[10:11], v[12:13], s[30:31], -v[112:113]
	v_add_f64 v[12:13], v[106:107], v[110:111]
	v_add_f64 v[106:107], v[106:107], -v[110:111]
	v_add_f64 v[2:3], v[10:11], v[2:3]
	v_add_f64 v[10:11], v[104:105], v[108:109]
	v_add_f64 v[104:105], v[104:105], -v[108:109]
	v_mul_f64 v[108:109], v[106:107], s[42:43]
	v_fma_f64 v[110:111], v[10:11], s[12:13], -v[108:109]
	v_add_f64 v[8:9], v[110:111], v[8:9]
	v_mul_f64 v[110:111], v[104:105], s[42:43]
	v_fmac_f64_e32 v[108:109], s[12:13], v[10:11]
	v_add_f64 v[6:7], v[108:109], v[6:7]
	v_fma_f64 v[108:109], v[12:13], s[12:13], -v[110:111]
	v_add_f64 v[14:15], v[108:109], v[14:15]
	v_mul_f64 v[108:109], v[106:107], s[40:41]
	v_fma_f64 v[112:113], s[12:13], v[12:13], v[110:111]
	v_fma_f64 v[110:111], v[10:11], s[36:37], -v[108:109]
	v_add_f64 v[20:21], v[110:111], v[20:21]
	v_mul_f64 v[110:111], v[104:105], s[40:41]
	v_fmac_f64_e32 v[108:109], s[36:37], v[10:11]
	v_add_f64 v[18:19], v[108:109], v[18:19]
	v_fma_f64 v[108:109], v[12:13], s[36:37], -v[110:111]
	v_add_f64 v[22:23], v[108:109], v[22:23]
	v_mul_f64 v[108:109], v[106:107], s[52:53]
	v_add_f64 v[16:17], v[112:113], v[16:17]
	v_fma_f64 v[112:113], s[36:37], v[12:13], v[110:111]
	v_fma_f64 v[110:111], v[10:11], s[14:15], -v[108:109]
	v_add_f64 v[28:29], v[110:111], v[28:29]
	v_mul_f64 v[110:111], v[104:105], s[52:53]
	v_fmac_f64_e32 v[108:109], s[14:15], v[10:11]
	v_add_f64 v[26:27], v[108:109], v[26:27]
	v_fma_f64 v[108:109], v[12:13], s[14:15], -v[110:111]
	v_add_f64 v[30:31], v[108:109], v[30:31]
	v_mul_f64 v[108:109], v[106:107], s[44:45]
	v_add_f64 v[24:25], v[112:113], v[24:25]
	v_fma_f64 v[112:113], s[14:15], v[12:13], v[110:111]
	v_fma_f64 v[110:111], v[10:11], s[26:27], -v[108:109]
	v_add_f64 v[36:37], v[110:111], v[36:37]
	v_mul_f64 v[110:111], v[104:105], s[44:45]
	v_fmac_f64_e32 v[108:109], s[26:27], v[10:11]
	v_add_f64 v[34:35], v[108:109], v[34:35]
	v_fma_f64 v[108:109], v[12:13], s[26:27], -v[110:111]
	v_add_f64 v[32:33], v[112:113], v[32:33]
	v_fma_f64 v[112:113], s[26:27], v[12:13], v[110:111]
	v_add_f64 v[38:39], v[108:109], v[38:39]
	v_mul_f64 v[108:109], v[106:107], s[2:3]
	v_add_f64 v[40:41], v[112:113], v[40:41]
	v_fma_f64 v[110:111], v[10:11], s[18:19], -v[108:109]
	v_mul_f64 v[112:113], v[104:105], s[2:3]
	v_fmac_f64_e32 v[108:109], s[18:19], v[10:11]
	v_add_f64 v[4:5], v[114:115], v[4:5]
	v_fma_f64 v[114:115], s[18:19], v[12:13], v[112:113]
	v_add_f64 v[42:43], v[108:109], v[42:43]
	v_fma_f64 v[108:109], v[12:13], s[18:19], -v[112:113]
	v_mul_f64 v[112:113], v[106:107], s[34:35]
	v_add_f64 v[110:111], v[110:111], v[118:119]
	v_add_f64 v[118:119], v[114:115], v[122:123]
	v_fma_f64 v[114:115], v[10:11], s[30:31], -v[112:113]
	v_add_f64 v[122:123], v[114:115], v[124:125]
	v_mul_f64 v[114:115], v[104:105], s[34:35]
	v_fmac_f64_e32 v[112:113], s[30:31], v[10:11]
	v_add_f64 v[120:121], v[112:113], v[120:121]
	v_fma_f64 v[112:113], v[12:13], s[30:31], -v[114:115]
	s_mov_b32 s57, 0x3fe9895b
	s_mov_b32 s56, s24
	v_add_f64 v[126:127], v[112:113], v[126:127]
	v_mul_f64 v[112:113], v[106:107], s[56:57]
	v_add_f64 v[108:109], v[108:109], v[116:117]
	v_fma_f64 v[116:117], s[30:31], v[12:13], v[114:115]
	v_fma_f64 v[114:115], v[10:11], s[20:21], -v[112:113]
	v_add_f64 v[142:143], v[142:143], v[150:151]
	v_add_f64 v[160:161], v[114:115], v[132:133]
	v_mul_f64 v[114:115], v[104:105], s[56:57]
	v_fmac_f64_e32 v[112:113], s[20:21], v[10:11]
	v_add_f64 v[146:147], v[146:147], v[154:155]
	v_add_f64 v[134:135], v[134:135], v[142:143]
	;; [unrolled: 1-line block ×3, first 2 shown]
	v_fma_f64 v[112:113], v[12:13], s[20:21], -v[114:115]
	v_mul_f64 v[106:107], v[106:107], s[46:47]
	v_add_f64 v[138:139], v[138:139], v[146:147]
	v_add_f64 v[166:167], v[112:113], v[134:135]
	v_fma_f64 v[112:113], v[10:11], s[22:23], -v[106:107]
	v_mul_f64 v[104:105], v[104:105], s[46:47]
	v_add_f64 v[124:125], v[116:117], v[130:131]
	v_fma_f64 v[116:117], s[20:21], v[12:13], v[114:115]
	v_add_f64 v[168:169], v[112:113], v[138:139]
	v_fma_f64 v[112:113], s[22:23], v[12:13], v[104:105]
	v_fmac_f64_e32 v[106:107], s[22:23], v[10:11]
	v_fma_f64 v[10:11], v[12:13], s[22:23], -v[104:105]
	v_add_f64 v[12:13], v[98:99], v[102:103]
	v_add_f64 v[98:99], v[98:99], -v[102:103]
	v_add_f64 v[2:3], v[10:11], v[2:3]
	v_add_f64 v[10:11], v[96:97], v[100:101]
	v_add_f64 v[96:97], v[96:97], -v[100:101]
	v_mul_f64 v[100:101], v[98:99], s[16:17]
	v_fma_f64 v[102:103], v[10:11], s[14:15], -v[100:101]
	v_add_f64 v[148:149], v[148:149], v[156:157]
	v_add_f64 v[156:157], v[102:103], v[8:9]
	v_mul_f64 v[8:9], v[96:97], s[16:17]
	v_fmac_f64_e32 v[100:101], s[14:15], v[10:11]
	v_add_f64 v[140:141], v[140:141], v[148:149]
	v_add_f64 v[148:149], v[100:101], v[6:7]
	v_fma_f64 v[6:7], v[12:13], s[14:15], -v[8:9]
	v_add_f64 v[150:151], v[6:7], v[14:15]
	v_mul_f64 v[6:7], v[98:99], s[54:55]
	v_fma_f64 v[102:103], s[14:15], v[12:13], v[8:9]
	v_fma_f64 v[8:9], v[10:11], s[30:31], -v[6:7]
	v_add_f64 v[144:145], v[144:145], v[152:153]
	v_add_f64 v[152:153], v[8:9], v[20:21]
	v_mul_f64 v[8:9], v[96:97], s[54:55]
	v_fmac_f64_e32 v[6:7], s[30:31], v[10:11]
	v_add_f64 v[170:171], v[112:113], v[140:141]
	v_add_f64 v[140:141], v[6:7], v[18:19]
	v_fma_f64 v[6:7], v[12:13], s[30:31], -v[8:9]
	v_add_f64 v[142:143], v[6:7], v[22:23]
	v_mul_f64 v[6:7], v[98:99], s[46:47]
	v_fma_f64 v[14:15], s[30:31], v[12:13], v[8:9]
	v_fma_f64 v[8:9], v[10:11], s[22:23], -v[6:7]
	v_add_f64 v[136:137], v[136:137], v[144:145]
	v_add_f64 v[144:145], v[8:9], v[28:29]
	v_mul_f64 v[8:9], v[96:97], s[46:47]
	v_fmac_f64_e32 v[6:7], s[22:23], v[10:11]
	v_add_f64 v[128:129], v[6:7], v[26:27]
	v_fma_f64 v[6:7], v[12:13], s[22:23], -v[8:9]
	v_add_f64 v[130:131], v[6:7], v[30:31]
	v_mul_f64 v[6:7], v[98:99], s[2:3]
	v_add_f64 v[154:155], v[14:15], v[24:25]
	v_fma_f64 v[14:15], s[22:23], v[12:13], v[8:9]
	v_fma_f64 v[8:9], v[10:11], s[18:19], -v[6:7]
	v_add_f64 v[132:133], v[8:9], v[36:37]
	v_mul_f64 v[8:9], v[96:97], s[2:3]
	v_fmac_f64_e32 v[6:7], s[18:19], v[10:11]
	v_add_f64 v[112:113], v[6:7], v[34:35]
	v_fma_f64 v[6:7], v[12:13], s[18:19], -v[8:9]
	v_add_f64 v[114:115], v[6:7], v[38:39]
	v_mul_f64 v[6:7], v[98:99], s[40:41]
	v_add_f64 v[146:147], v[14:15], v[32:33]
	v_fma_f64 v[14:15], s[18:19], v[12:13], v[8:9]
	v_fma_f64 v[8:9], v[10:11], s[36:37], -v[6:7]
	v_add_f64 v[162:163], v[116:117], v[136:137]
	v_add_f64 v[116:117], v[8:9], v[110:111]
	v_mul_f64 v[8:9], v[96:97], s[40:41]
	v_fmac_f64_e32 v[6:7], s[36:37], v[10:11]
	v_add_f64 v[100:101], v[6:7], v[42:43]
	v_fma_f64 v[6:7], v[12:13], s[36:37], -v[8:9]
	s_mov_b32 s49, 0x3fefdd0d
	s_mov_b32 s48, s42
	v_add_f64 v[158:159], v[102:103], v[16:17]
	v_add_f64 v[102:103], v[6:7], v[108:109]
	v_mul_f64 v[6:7], v[98:99], s[48:49]
	v_add_f64 v[134:135], v[14:15], v[40:41]
	v_fma_f64 v[14:15], s[36:37], v[12:13], v[8:9]
	v_fma_f64 v[8:9], v[10:11], s[12:13], -v[6:7]
	v_add_f64 v[136:137], v[8:9], v[122:123]
	v_mul_f64 v[8:9], v[96:97], s[48:49]
	v_fmac_f64_e32 v[6:7], s[12:13], v[10:11]
	v_add_f64 v[120:121], v[6:7], v[120:121]
	v_fma_f64 v[6:7], v[12:13], s[12:13], -v[8:9]
	v_add_f64 v[122:123], v[6:7], v[126:127]
	v_mul_f64 v[6:7], v[98:99], s[38:39]
	v_add_f64 v[118:119], v[14:15], v[118:119]
	v_fma_f64 v[14:15], s[12:13], v[12:13], v[8:9]
	v_fma_f64 v[8:9], v[10:11], s[26:27], -v[6:7]
	v_add_f64 v[138:139], v[14:15], v[124:125]
	v_add_f64 v[124:125], v[8:9], v[160:161]
	v_mul_f64 v[8:9], v[96:97], s[38:39]
	v_fmac_f64_e32 v[6:7], s[26:27], v[10:11]
	v_add_f64 v[104:105], v[6:7], v[164:165]
	v_fma_f64 v[6:7], v[12:13], s[26:27], -v[8:9]
	v_add_f64 v[4:5], v[106:107], v[4:5]
	v_add_f64 v[106:107], v[6:7], v[166:167]
	v_mul_f64 v[6:7], v[98:99], s[24:25]
	v_fma_f64 v[14:15], s[26:27], v[12:13], v[8:9]
	v_fma_f64 v[8:9], v[10:11], s[20:21], -v[6:7]
	v_add_f64 v[108:109], v[8:9], v[168:169]
	v_mul_f64 v[8:9], v[96:97], s[24:25]
	v_fmac_f64_e32 v[6:7], s[20:21], v[10:11]
	v_add_f64 v[96:97], v[6:7], v[4:5]
	v_fma_f64 v[4:5], v[12:13], s[20:21], -v[8:9]
	v_add_f64 v[6:7], v[88:89], -v[92:93]
	v_add_f64 v[126:127], v[14:15], v[162:163]
	v_fma_f64 v[14:15], s[20:21], v[12:13], v[8:9]
	v_add_f64 v[98:99], v[4:5], v[2:3]
	v_add_f64 v[2:3], v[90:91], v[94:95]
	v_add_f64 v[8:9], v[90:91], -v[94:95]
	v_mul_f64 v[38:39], v[6:7], s[34:35]
	v_add_f64 v[4:5], v[88:89], v[92:93]
	v_fma_f64 v[40:41], s[30:31], v[2:3], v[38:39]
	v_fma_f64 v[38:39], v[2:3], s[30:31], -v[38:39]
	v_mul_f64 v[42:43], v[8:9], s[48:49]
	v_mul_f64 v[90:91], v[6:7], s[48:49]
	v_add_f64 v[38:39], v[38:39], v[114:115]
	v_fma_f64 v[88:89], v[4:5], s[12:13], -v[42:43]
	v_fma_f64 v[92:93], s[12:13], v[2:3], v[90:91]
	v_mul_f64 v[114:115], v[8:9], s[40:41]
	v_add_f64 v[88:89], v[88:89], v[116:117]
	v_add_f64 v[92:93], v[92:93], v[118:119]
	v_fma_f64 v[116:117], v[4:5], s[36:37], -v[114:115]
	v_mul_f64 v[118:119], v[6:7], s[40:41]
	v_fmac_f64_e32 v[114:115], s[36:37], v[4:5]
	v_mul_f64 v[10:11], v[8:9], s[24:25]
	v_mul_f64 v[18:19], v[8:9], s[52:53]
	;; [unrolled: 1-line block ×5, first 2 shown]
	v_add_f64 v[104:105], v[114:115], v[104:105]
	v_fma_f64 v[114:115], v[2:3], s[36:37], -v[118:119]
	v_mul_f64 v[8:9], v[8:9], s[28:29]
	v_fmac_f64_e32 v[42:43], s[12:13], v[4:5]
	v_fma_f64 v[90:91], v[2:3], s[12:13], -v[90:91]
	v_add_f64 v[106:107], v[114:115], v[106:107]
	v_fma_f64 v[114:115], v[4:5], s[18:19], -v[8:9]
	v_fmac_f64_e32 v[8:9], s[18:19], v[4:5]
	v_add_f64 v[110:111], v[14:15], v[170:171]
	v_fma_f64 v[12:13], v[4:5], s[20:21], -v[10:11]
	v_mul_f64 v[14:15], v[6:7], s[24:25]
	v_fmac_f64_e32 v[10:11], s[20:21], v[4:5]
	v_fma_f64 v[20:21], v[4:5], s[14:15], -v[18:19]
	v_mul_f64 v[22:23], v[6:7], s[52:53]
	v_fmac_f64_e32 v[18:19], s[14:15], v[4:5]
	;; [unrolled: 3-line block ×3, first 2 shown]
	v_fma_f64 v[36:37], v[4:5], s[30:31], -v[34:35]
	v_fmac_f64_e32 v[34:35], s[30:31], v[4:5]
	v_add_f64 v[42:43], v[42:43], v[100:101]
	v_add_f64 v[90:91], v[90:91], v[102:103]
	v_fma_f64 v[100:101], v[4:5], s[22:23], -v[94:95]
	v_mul_f64 v[102:103], v[6:7], s[50:51]
	v_fmac_f64_e32 v[94:95], s[22:23], v[4:5]
	v_mul_f64 v[6:7], v[6:7], s[28:29]
	v_add_f64 v[4:5], v[8:9], v[96:97]
	v_add_f64 v[8:9], v[82:83], v[86:87]
	v_add_f64 v[82:83], v[82:83], -v[86:87]
	v_fma_f64 v[16:17], s[20:21], v[2:3], v[14:15]
	v_fma_f64 v[14:15], v[2:3], s[20:21], -v[14:15]
	v_fma_f64 v[24:25], s[14:15], v[2:3], v[22:23]
	v_fma_f64 v[22:23], v[2:3], s[14:15], -v[22:23]
	;; [unrolled: 2-line block ×3, first 2 shown]
	v_add_f64 v[34:35], v[34:35], v[112:113]
	v_fma_f64 v[112:113], s[22:23], v[2:3], v[102:103]
	v_add_f64 v[94:95], v[94:95], v[120:121]
	v_fma_f64 v[102:103], v[2:3], s[22:23], -v[102:103]
	v_fma_f64 v[120:121], s[36:37], v[2:3], v[118:119]
	v_add_f64 v[108:109], v[114:115], v[108:109]
	v_fma_f64 v[114:115], s[18:19], v[2:3], v[6:7]
	v_fma_f64 v[2:3], v[2:3], s[18:19], -v[6:7]
	v_add_f64 v[6:7], v[80:81], v[84:85]
	v_add_f64 v[80:81], v[80:81], -v[84:85]
	v_mul_f64 v[84:85], v[82:83], s[34:35]
	v_add_f64 v[12:13], v[12:13], v[156:157]
	v_fma_f64 v[86:87], v[6:7], s[30:31], -v[84:85]
	v_add_f64 v[10:11], v[10:11], v[148:149]
	v_add_f64 v[12:13], v[86:87], v[12:13]
	v_mul_f64 v[86:87], v[80:81], s[34:35]
	v_fmac_f64_e32 v[84:85], s[30:31], v[6:7]
	v_add_f64 v[14:15], v[14:15], v[150:151]
	v_add_f64 v[10:11], v[84:85], v[10:11]
	v_fma_f64 v[84:85], v[8:9], s[30:31], -v[86:87]
	v_add_f64 v[14:15], v[84:85], v[14:15]
	v_mul_f64 v[84:85], v[82:83], s[28:29]
	v_add_f64 v[20:21], v[20:21], v[152:153]
	v_fma_f64 v[96:97], s[30:31], v[8:9], v[86:87]
	v_fma_f64 v[86:87], v[6:7], s[18:19], -v[84:85]
	v_add_f64 v[18:19], v[18:19], v[140:141]
	v_add_f64 v[20:21], v[86:87], v[20:21]
	v_mul_f64 v[86:87], v[80:81], s[28:29]
	v_fmac_f64_e32 v[84:85], s[18:19], v[6:7]
	v_add_f64 v[22:23], v[22:23], v[142:143]
	v_add_f64 v[18:19], v[84:85], v[18:19]
	v_fma_f64 v[84:85], v[8:9], s[18:19], -v[86:87]
	v_add_f64 v[16:17], v[16:17], v[158:159]
	v_add_f64 v[22:23], v[84:85], v[22:23]
	v_mul_f64 v[84:85], v[82:83], s[42:43]
	v_add_f64 v[28:29], v[28:29], v[144:145]
	v_add_f64 v[16:17], v[96:97], v[16:17]
	v_fma_f64 v[96:97], s[18:19], v[8:9], v[86:87]
	v_fma_f64 v[86:87], v[6:7], s[12:13], -v[84:85]
	v_add_f64 v[26:27], v[26:27], v[128:129]
	v_add_f64 v[28:29], v[86:87], v[28:29]
	v_mul_f64 v[86:87], v[80:81], s[42:43]
	v_fmac_f64_e32 v[84:85], s[12:13], v[6:7]
	v_add_f64 v[30:31], v[30:31], v[130:131]
	v_add_f64 v[26:27], v[84:85], v[26:27]
	v_fma_f64 v[84:85], v[8:9], s[12:13], -v[86:87]
	v_add_f64 v[24:25], v[24:25], v[154:155]
	v_add_f64 v[30:31], v[84:85], v[30:31]
	v_mul_f64 v[84:85], v[82:83], s[56:57]
	v_add_f64 v[36:37], v[36:37], v[132:133]
	v_add_f64 v[24:25], v[96:97], v[24:25]
	v_fma_f64 v[96:97], s[12:13], v[8:9], v[86:87]
	v_fma_f64 v[86:87], v[6:7], s[20:21], -v[84:85]
	v_add_f64 v[36:37], v[86:87], v[36:37]
	v_mul_f64 v[86:87], v[80:81], s[56:57]
	v_fmac_f64_e32 v[84:85], s[20:21], v[6:7]
	v_add_f64 v[34:35], v[84:85], v[34:35]
	v_fma_f64 v[84:85], v[8:9], s[20:21], -v[86:87]
	v_add_f64 v[32:33], v[32:33], v[146:147]
	v_add_f64 v[38:39], v[84:85], v[38:39]
	v_mul_f64 v[84:85], v[82:83], s[38:39]
	v_add_f64 v[40:41], v[40:41], v[134:135]
	v_add_f64 v[32:33], v[96:97], v[32:33]
	v_fma_f64 v[96:97], s[20:21], v[8:9], v[86:87]
	v_fma_f64 v[86:87], v[6:7], s[26:27], -v[84:85]
	v_add_f64 v[40:41], v[96:97], v[40:41]
	v_add_f64 v[96:97], v[86:87], v[88:89]
	v_mul_f64 v[86:87], v[80:81], s[38:39]
	v_fmac_f64_e32 v[84:85], s[26:27], v[6:7]
	v_add_f64 v[42:43], v[84:85], v[42:43]
	v_fma_f64 v[84:85], v[8:9], s[26:27], -v[86:87]
	v_add_f64 v[110:111], v[114:115], v[110:111]
	v_add_f64 v[114:115], v[84:85], v[90:91]
	v_mul_f64 v[84:85], v[82:83], s[40:41]
	v_add_f64 v[100:101], v[100:101], v[136:137]
	v_fma_f64 v[88:89], s[26:27], v[8:9], v[86:87]
	v_fma_f64 v[86:87], v[6:7], s[36:37], -v[84:85]
	v_add_f64 v[100:101], v[86:87], v[100:101]
	v_mul_f64 v[86:87], v[80:81], s[40:41]
	v_fmac_f64_e32 v[84:85], s[36:37], v[6:7]
	v_add_f64 v[102:103], v[102:103], v[122:123]
	v_add_f64 v[118:119], v[84:85], v[94:95]
	v_fma_f64 v[84:85], v[8:9], s[36:37], -v[86:87]
	v_add_f64 v[122:123], v[84:85], v[102:103]
	v_mul_f64 v[84:85], v[82:83], s[46:47]
	v_add_f64 v[116:117], v[116:117], v[124:125]
	v_add_f64 v[2:3], v[2:3], v[98:99]
	;; [unrolled: 1-line block ×3, first 2 shown]
	v_fma_f64 v[88:89], s[36:37], v[8:9], v[86:87]
	v_fma_f64 v[86:87], v[6:7], s[22:23], -v[84:85]
	v_add_f64 v[116:117], v[86:87], v[116:117]
	v_mul_f64 v[86:87], v[80:81], s[46:47]
	v_fmac_f64_e32 v[84:85], s[22:23], v[6:7]
	v_add_f64 v[124:125], v[84:85], v[104:105]
	v_fma_f64 v[84:85], v[8:9], s[22:23], -v[86:87]
	v_mul_f64 v[82:83], v[82:83], s[16:17]
	v_add_f64 v[112:113], v[112:113], v[138:139]
	v_add_f64 v[120:121], v[120:121], v[126:127]
	;; [unrolled: 1-line block ×3, first 2 shown]
	v_fma_f64 v[84:85], v[6:7], s[14:15], -v[82:83]
	v_mul_f64 v[80:81], v[80:81], s[16:17]
	v_fmac_f64_e32 v[82:83], s[14:15], v[6:7]
	v_add_f64 v[140:141], v[72:73], -v[76:77]
	v_add_f64 v[112:113], v[88:89], v[112:113]
	v_fma_f64 v[88:89], s[22:23], v[8:9], v[86:87]
	v_add_f64 v[128:129], v[84:85], v[108:109]
	v_fma_f64 v[84:85], s[14:15], v[8:9], v[80:81]
	v_add_f64 v[132:133], v[82:83], v[4:5]
	v_fma_f64 v[4:5], v[8:9], s[14:15], -v[80:81]
	v_add_f64 v[138:139], v[74:75], v[78:79]
	v_add_f64 v[142:143], v[74:75], -v[78:79]
	v_mul_f64 v[8:9], v[140:141], s[40:41]
	v_add_f64 v[134:135], v[4:5], v[2:3]
	v_add_f64 v[136:137], v[72:73], v[76:77]
	v_mul_f64 v[6:7], v[142:143], s[40:41]
	v_fma_f64 v[4:5], s[36:37], v[138:139], v[8:9]
	v_fma_f64 v[8:9], v[138:139], s[36:37], -v[8:9]
	v_fma_f64 v[2:3], v[136:137], s[36:37], -v[6:7]
	v_fmac_f64_e32 v[6:7], s[36:37], v[136:137]
	v_add_f64 v[8:9], v[8:9], v[14:15]
	v_mul_f64 v[14:15], v[142:143], s[44:45]
	v_add_f64 v[4:5], v[4:5], v[16:17]
	v_add_f64 v[6:7], v[6:7], v[10:11]
	v_fma_f64 v[10:11], v[136:137], s[26:27], -v[14:15]
	v_mul_f64 v[16:17], v[140:141], s[44:45]
	v_fmac_f64_e32 v[14:15], s[26:27], v[136:137]
	v_add_f64 v[72:73], v[14:15], v[18:19]
	v_fma_f64 v[14:15], v[138:139], s[26:27], -v[16:17]
	v_add_f64 v[74:75], v[14:15], v[22:23]
	v_mul_f64 v[14:15], v[142:143], s[34:35]
	v_add_f64 v[2:3], v[2:3], v[12:13]
	v_fma_f64 v[12:13], s[26:27], v[138:139], v[16:17]
	v_fma_f64 v[16:17], v[136:137], s[30:31], -v[14:15]
	v_add_f64 v[76:77], v[16:17], v[28:29]
	v_mul_f64 v[16:17], v[140:141], s[34:35]
	v_fmac_f64_e32 v[14:15], s[30:31], v[136:137]
	v_add_f64 v[80:81], v[14:15], v[26:27]
	v_fma_f64 v[14:15], v[138:139], s[30:31], -v[16:17]
	v_add_f64 v[82:83], v[14:15], v[30:31]
	v_mul_f64 v[14:15], v[142:143], s[46:47]
	v_fma_f64 v[18:19], s[30:31], v[138:139], v[16:17]
	v_fma_f64 v[16:17], v[136:137], s[22:23], -v[14:15]
	v_add_f64 v[130:131], v[84:85], v[110:111]
	v_add_f64 v[84:85], v[16:17], v[36:37]
	v_mul_f64 v[16:17], v[140:141], s[46:47]
	v_fmac_f64_e32 v[14:15], s[22:23], v[136:137]
	v_add_f64 v[120:121], v[88:89], v[120:121]
	v_add_f64 v[88:89], v[14:15], v[34:35]
	v_fma_f64 v[14:15], v[138:139], s[22:23], -v[16:17]
	v_add_f64 v[90:91], v[14:15], v[38:39]
	v_mul_f64 v[14:15], v[142:143], s[24:25]
	v_add_f64 v[78:79], v[18:19], v[32:33]
	v_fma_f64 v[18:19], s[22:23], v[138:139], v[16:17]
	v_fma_f64 v[16:17], v[136:137], s[20:21], -v[14:15]
	v_add_f64 v[92:93], v[16:17], v[96:97]
	v_mul_f64 v[16:17], v[140:141], s[24:25]
	v_fmac_f64_e32 v[14:15], s[20:21], v[136:137]
	v_add_f64 v[86:87], v[18:19], v[40:41]
	v_fma_f64 v[18:19], s[20:21], v[138:139], v[16:17]
	v_add_f64 v[96:97], v[14:15], v[42:43]
	v_fma_f64 v[14:15], v[138:139], s[20:21], -v[16:17]
	v_add_f64 v[94:95], v[18:19], v[98:99]
	v_add_f64 v[98:99], v[14:15], v[114:115]
	v_mul_f64 v[14:15], v[142:143], s[28:29]
	v_fma_f64 v[16:17], v[136:137], s[18:19], -v[14:15]
	v_add_f64 v[100:101], v[16:17], v[100:101]
	v_mul_f64 v[16:17], v[140:141], s[28:29]
	v_fmac_f64_e32 v[14:15], s[18:19], v[136:137]
	v_add_f64 v[104:105], v[14:15], v[118:119]
	v_fma_f64 v[14:15], v[138:139], s[18:19], -v[16:17]
	v_add_f64 v[106:107], v[14:15], v[122:123]
	v_mul_f64 v[14:15], v[142:143], s[16:17]
	v_fma_f64 v[18:19], s[18:19], v[138:139], v[16:17]
	v_fma_f64 v[16:17], v[136:137], s[14:15], -v[14:15]
	v_add_f64 v[108:109], v[16:17], v[116:117]
	v_mul_f64 v[16:17], v[140:141], s[16:17]
	v_fmac_f64_e32 v[14:15], s[14:15], v[136:137]
	v_add_f64 v[102:103], v[18:19], v[112:113]
	v_add_f64 v[112:113], v[14:15], v[124:125]
	v_fma_f64 v[14:15], v[138:139], s[14:15], -v[16:17]
	v_add_f64 v[114:115], v[14:15], v[126:127]
	v_mul_f64 v[14:15], v[142:143], s[48:49]
	v_fma_f64 v[18:19], s[14:15], v[138:139], v[16:17]
	v_fma_f64 v[16:17], v[136:137], s[12:13], -v[14:15]
	v_add_f64 v[116:117], v[16:17], v[128:129]
	v_mul_f64 v[16:17], v[140:141], s[48:49]
	v_fmac_f64_e32 v[14:15], s[12:13], v[136:137]
	v_mul_lo_u16_e32 v1, 17, v44
	s_movk_i32 s61, 0xf1
	v_add_f64 v[110:111], v[18:19], v[120:121]
	v_fma_f64 v[18:19], s[12:13], v[138:139], v[16:17]
	v_add_f64 v[120:121], v[14:15], v[132:133]
	v_fma_f64 v[14:15], v[138:139], s[12:13], -v[16:17]
	v_lshlrev_b32_e32 v16, 4, v1
	v_mul_lo_u16_sdwa v1, v44, s61 dst_sel:DWORD dst_unused:UNUSED_PAD src0_sel:BYTE_0 src1_sel:DWORD
	v_lshrrev_b16_e32 v1, 12, v1
	v_add_f64 v[10:11], v[10:11], v[20:21]
	v_add_f64 v[12:13], v[12:13], v[24:25]
	;; [unrolled: 1-line block ×4, first 2 shown]
	s_barrier
	ds_write_b128 v16, v[68:71]
	ds_write_b128 v16, v[2:5] offset:16
	ds_write_b128 v16, v[10:13] offset:32
	;; [unrolled: 1-line block ×16, first 2 shown]
	v_mul_lo_u16_e32 v2, 17, v1
	v_sub_u16_e32 v2, v44, v2
	v_and_b32_e32 v17, 0xff, v2
	v_lshlrev_b32_e32 v2, 8, v17
	s_waitcnt lgkmcnt(0)
	s_barrier
	global_load_dwordx4 v[80:83], v2, s[10:11]
	global_load_dwordx4 v[76:79], v2, s[10:11] offset:16
	global_load_dwordx4 v[24:27], v2, s[10:11] offset:32
	;; [unrolled: 1-line block ×15, first 2 shown]
	ds_read_b128 v[136:139], v0
	ds_read_b128 v[2:5], v0 offset:1632
	ds_read_b128 v[10:13], v0 offset:3264
	;; [unrolled: 1-line block ×16, first 2 shown]
	v_mul_u32_u24_e32 v1, 0x121, v1
	v_add_lshl_u32 v17, v1, v17, 4
	s_waitcnt lgkmcnt(0)
	s_barrier
	v_accvgpr_write_b32 a36, v58
	v_accvgpr_write_b32 a28, v50
	;; [unrolled: 1-line block ×21, first 2 shown]
	s_waitcnt vmcnt(15)
	v_mul_f64 v[6:7], v[4:5], v[82:83]
	v_fma_f64 v[14:15], v[2:3], v[80:81], -v[6:7]
	v_mul_f64 v[18:19], v[2:3], v[82:83]
	s_waitcnt vmcnt(14)
	v_mul_f64 v[2:3], v[12:13], v[78:79]
	v_fmac_f64_e32 v[18:19], v[4:5], v[80:81]
	v_fma_f64 v[8:9], v[10:11], v[76:77], -v[2:3]
	v_mul_f64 v[6:7], v[10:11], v[78:79]
	s_waitcnt vmcnt(13)
	v_mul_f64 v[2:3], v[134:135], v[26:27]
	v_mul_f64 v[180:181], v[132:133], v[26:27]
	v_accvgpr_write_b32 a79, v27
	v_fmac_f64_e32 v[6:7], v[12:13], v[76:77]
	v_fma_f64 v[182:183], v[132:133], v[24:25], -v[2:3]
	v_accvgpr_write_b32 a78, v26
	v_accvgpr_write_b32 a77, v25
	;; [unrolled: 1-line block ×3, first 2 shown]
	v_fmac_f64_e32 v[180:181], v[134:135], v[24:25]
	s_waitcnt vmcnt(12)
	v_mul_f64 v[2:3], v[142:143], v[22:23]
	v_add_f64 v[24:25], v[136:137], v[14:15]
	v_add_f64 v[26:27], v[138:139], v[18:19]
	v_fma_f64 v[174:175], v[140:141], v[20:21], -v[2:3]
	v_mul_f64 v[172:173], v[140:141], v[22:23]
	s_waitcnt vmcnt(11)
	v_mul_f64 v[2:3], v[146:147], v[98:99]
	v_add_f64 v[24:25], v[24:25], v[8:9]
	v_add_f64 v[26:27], v[26:27], v[6:7]
	v_fmac_f64_e32 v[172:173], v[142:143], v[20:21]
	v_fma_f64 v[166:167], v[144:145], v[96:97], -v[2:3]
	v_mul_f64 v[164:165], v[144:145], v[98:99]
	s_waitcnt vmcnt(10)
	v_mul_f64 v[2:3], v[150:151], v[94:95]
	v_add_f64 v[24:25], v[24:25], v[182:183]
	v_add_f64 v[26:27], v[26:27], v[180:181]
	v_fmac_f64_e32 v[164:165], v[146:147], v[96:97]
	;; [unrolled: 7-line block ×10, first 2 shown]
	v_fma_f64 v[4:5], v[196:197], v[124:125], -v[2:3]
	v_mul_f64 v[2:3], v[196:197], v[126:127]
	s_waitcnt vmcnt(1)
	v_mul_f64 v[10:11], v[202:203], v[122:123]
	v_add_f64 v[24:25], v[24:25], v[170:171]
	v_add_f64 v[26:27], v[26:27], v[168:169]
	v_accvgpr_write_b32 a75, v23
	v_fmac_f64_e32 v[2:3], v[198:199], v[124:125]
	v_fma_f64 v[12:13], v[200:201], v[120:121], -v[10:11]
	v_mul_f64 v[10:11], v[200:201], v[122:123]
	v_add_f64 v[24:25], v[24:25], v[178:179]
	v_add_f64 v[26:27], v[26:27], v[176:177]
	v_accvgpr_write_b32 a74, v22
	v_accvgpr_write_b32 a73, v21
	;; [unrolled: 1-line block ×3, first 2 shown]
	v_fmac_f64_e32 v[10:11], v[202:203], v[120:121]
	s_waitcnt vmcnt(0)
	v_mul_f64 v[20:21], v[206:207], v[118:119]
	v_mul_f64 v[22:23], v[204:205], v[118:119]
	v_add_f64 v[24:25], v[24:25], v[4:5]
	v_add_f64 v[26:27], v[26:27], v[2:3]
	v_fma_f64 v[20:21], v[204:205], v[116:117], -v[20:21]
	v_fmac_f64_e32 v[22:23], v[206:207], v[116:117]
	v_add_f64 v[24:25], v[24:25], v[12:13]
	v_add_f64 v[26:27], v[26:27], v[10:11]
	;; [unrolled: 1-line block ×6, first 2 shown]
	v_add_f64 v[14:15], v[14:15], -v[20:21]
	v_add_f64 v[18:19], v[18:19], -v[22:23]
	v_mul_f64 v[20:21], v[18:19], s[38:39]
	v_mul_f64 v[28:29], v[14:15], s[38:39]
	;; [unrolled: 1-line block ×9, first 2 shown]
	v_fma_f64 v[22:23], v[24:25], s[26:27], -v[20:21]
	v_fmac_f64_e32 v[20:21], s[26:27], v[24:25]
	v_fma_f64 v[32:33], v[24:25], s[22:23], -v[30:31]
	v_fmac_f64_e32 v[30:31], s[22:23], v[24:25]
	;; [unrolled: 2-line block ×8, first 2 shown]
	v_fma_f64 v[24:25], s[26:27], v[26:27], v[28:29]
	v_fma_f64 v[28:29], v[26:27], s[26:27], -v[28:29]
	v_mul_f64 v[196:197], v[14:15], s[50:51]
	v_mul_f64 v[200:201], v[14:15], s[2:3]
	;; [unrolled: 1-line block ×7, first 2 shown]
	v_fma_f64 v[198:199], s[22:23], v[26:27], v[196:197]
	v_fma_f64 v[196:197], v[26:27], s[22:23], -v[196:197]
	v_fma_f64 v[202:203], s[18:19], v[26:27], v[200:201]
	v_fma_f64 v[200:201], v[26:27], s[18:19], -v[200:201]
	;; [unrolled: 2-line block ×7, first 2 shown]
	v_add_f64 v[22:23], v[136:137], v[22:23]
	v_add_f64 v[20:21], v[136:137], v[20:21]
	;; [unrolled: 1-line block ×18, first 2 shown]
	v_add_f64 v[8:9], v[8:9], -v[12:13]
	v_add_f64 v[12:13], v[6:7], v[10:11]
	v_add_f64 v[6:7], v[6:7], -v[10:11]
	v_mul_f64 v[10:11], v[6:7], s[50:51]
	v_add_f64 v[24:25], v[138:139], v[24:25]
	v_add_f64 v[32:33], v[138:139], v[198:199]
	;; [unrolled: 1-line block ×15, first 2 shown]
	v_fma_f64 v[138:139], v[136:137], s[22:23], -v[10:11]
	v_add_f64 v[22:23], v[138:139], v[22:23]
	v_mul_f64 v[138:139], v[8:9], s[50:51]
	v_fmac_f64_e32 v[10:11], s[22:23], v[136:137]
	v_add_f64 v[10:11], v[10:11], v[20:21]
	v_fma_f64 v[20:21], v[12:13], s[22:23], -v[138:139]
	v_add_f64 v[20:21], v[20:21], v[26:27]
	v_mul_f64 v[26:27], v[6:7], s[42:43]
	v_fma_f64 v[220:221], s[22:23], v[12:13], v[138:139]
	v_fma_f64 v[138:139], v[136:137], s[12:13], -v[26:27]
	v_add_f64 v[28:29], v[138:139], v[28:29]
	v_mul_f64 v[138:139], v[8:9], s[42:43]
	v_fmac_f64_e32 v[26:27], s[12:13], v[136:137]
	v_add_f64 v[24:25], v[220:221], v[24:25]
	v_fma_f64 v[220:221], s[12:13], v[12:13], v[138:139]
	v_add_f64 v[26:27], v[26:27], v[30:31]
	v_fma_f64 v[30:31], v[12:13], s[12:13], -v[138:139]
	v_mul_f64 v[138:139], v[6:7], s[24:25]
	v_add_f64 v[30:31], v[30:31], v[196:197]
	v_fma_f64 v[196:197], v[136:137], s[20:21], -v[138:139]
	v_add_f64 v[36:37], v[196:197], v[36:37]
	v_mul_f64 v[196:197], v[8:9], s[24:25]
	v_fmac_f64_e32 v[138:139], s[20:21], v[136:137]
	v_add_f64 v[32:33], v[220:221], v[32:33]
	v_fma_f64 v[220:221], s[20:21], v[12:13], v[196:197]
	v_add_f64 v[34:35], v[138:139], v[34:35]
	v_fma_f64 v[138:139], v[12:13], s[20:21], -v[196:197]
	v_mul_f64 v[196:197], v[6:7], s[40:41]
	v_add_f64 v[138:139], v[138:139], v[200:201]
	;; [unrolled: 10-line block ×5, first 2 shown]
	v_fma_f64 v[212:213], v[136:137], s[18:19], -v[208:209]
	v_add_f64 v[192:193], v[212:213], v[192:193]
	v_mul_f64 v[212:213], v[8:9], s[28:29]
	v_fmac_f64_e32 v[208:209], s[18:19], v[136:137]
	v_mul_f64 v[6:7], v[6:7], s[44:45]
	v_add_f64 v[210:211], v[220:221], v[210:211]
	v_fma_f64 v[220:221], s[18:19], v[12:13], v[212:213]
	v_add_f64 v[190:191], v[208:209], v[190:191]
	v_fma_f64 v[208:209], v[12:13], s[18:19], -v[212:213]
	v_fma_f64 v[212:213], v[136:137], s[26:27], -v[6:7]
	v_mul_f64 v[8:9], v[8:9], s[44:45]
	v_add_f64 v[194:195], v[212:213], v[194:195]
	v_fma_f64 v[212:213], s[26:27], v[12:13], v[8:9]
	v_fma_f64 v[8:9], v[12:13], s[26:27], -v[8:9]
	v_fmac_f64_e32 v[6:7], s[26:27], v[136:137]
	v_add_f64 v[8:9], v[8:9], v[14:15]
	v_add_f64 v[14:15], v[180:181], v[2:3]
	v_add_f64 v[2:3], v[180:181], -v[2:3]
	v_add_f64 v[6:7], v[6:7], v[18:19]
	v_add_f64 v[12:13], v[182:183], v[4:5]
	v_mul_f64 v[18:19], v[2:3], s[2:3]
	v_add_f64 v[4:5], v[182:183], -v[4:5]
	v_fma_f64 v[136:137], v[12:13], s[18:19], -v[18:19]
	v_add_f64 v[22:23], v[136:137], v[22:23]
	v_mul_f64 v[136:137], v[4:5], s[2:3]
	v_fmac_f64_e32 v[18:19], s[18:19], v[12:13]
	v_add_f64 v[10:11], v[18:19], v[10:11]
	v_fma_f64 v[18:19], v[14:15], s[18:19], -v[136:137]
	v_add_f64 v[18:19], v[18:19], v[20:21]
	v_mul_f64 v[20:21], v[2:3], s[24:25]
	v_fma_f64 v[180:181], s[18:19], v[14:15], v[136:137]
	v_fma_f64 v[136:137], v[12:13], s[20:21], -v[20:21]
	v_add_f64 v[28:29], v[136:137], v[28:29]
	v_mul_f64 v[136:137], v[4:5], s[24:25]
	v_fmac_f64_e32 v[20:21], s[20:21], v[12:13]
	v_add_f64 v[20:21], v[20:21], v[26:27]
	v_fma_f64 v[26:27], v[14:15], s[20:21], -v[136:137]
	v_add_f64 v[26:27], v[26:27], v[30:31]
	v_mul_f64 v[30:31], v[2:3], s[58:59]
	v_add_f64 v[24:25], v[180:181], v[24:25]
	v_fma_f64 v[180:181], s[20:21], v[14:15], v[136:137]
	v_fma_f64 v[136:137], v[12:13], s[36:37], -v[30:31]
	v_add_f64 v[36:37], v[136:137], v[36:37]
	v_mul_f64 v[136:137], v[4:5], s[58:59]
	v_fmac_f64_e32 v[30:31], s[36:37], v[12:13]
	v_add_f64 v[32:33], v[180:181], v[32:33]
	v_fma_f64 v[180:181], s[36:37], v[14:15], v[136:137]
	v_add_f64 v[30:31], v[30:31], v[34:35]
	v_fma_f64 v[34:35], v[14:15], s[36:37], -v[136:137]
	v_mul_f64 v[136:137], v[2:3], s[52:53]
	v_add_f64 v[34:35], v[34:35], v[138:139]
	v_fma_f64 v[138:139], v[12:13], s[14:15], -v[136:137]
	v_add_f64 v[40:41], v[138:139], v[40:41]
	v_mul_f64 v[138:139], v[4:5], s[52:53]
	v_fmac_f64_e32 v[136:137], s[14:15], v[12:13]
	v_fma_f64 v[182:183], s[14:15], v[14:15], v[138:139]
	v_add_f64 v[38:39], v[136:137], v[38:39]
	v_fma_f64 v[136:137], v[14:15], s[14:15], -v[138:139]
	v_mul_f64 v[138:139], v[2:3], s[46:47]
	v_add_f64 v[136:137], v[136:137], v[196:197]
	v_fma_f64 v[196:197], v[12:13], s[22:23], -v[138:139]
	v_add_f64 v[184:185], v[196:197], v[184:185]
	v_mul_f64 v[196:197], v[4:5], s[46:47]
	v_fmac_f64_e32 v[138:139], s[22:23], v[12:13]
	v_add_f64 v[180:181], v[180:181], v[198:199]
	v_fma_f64 v[198:199], s[22:23], v[14:15], v[196:197]
	v_add_f64 v[42:43], v[138:139], v[42:43]
	v_fma_f64 v[138:139], v[14:15], s[22:23], -v[196:197]
	v_mul_f64 v[196:197], v[2:3], s[38:39]
	v_add_f64 v[138:139], v[138:139], v[200:201]
	v_fma_f64 v[200:201], v[12:13], s[26:27], -v[196:197]
	v_add_f64 v[188:189], v[200:201], v[188:189]
	v_mul_f64 v[200:201], v[4:5], s[38:39]
	v_fmac_f64_e32 v[196:197], s[26:27], v[12:13]
	v_add_f64 v[182:183], v[182:183], v[202:203]
	v_fma_f64 v[202:203], s[26:27], v[14:15], v[200:201]
	v_add_f64 v[186:187], v[196:197], v[186:187]
	v_fma_f64 v[196:197], v[14:15], s[26:27], -v[200:201]
	v_mul_f64 v[200:201], v[2:3], s[42:43]
	v_add_f64 v[196:197], v[196:197], v[204:205]
	v_fma_f64 v[204:205], v[12:13], s[12:13], -v[200:201]
	v_add_f64 v[192:193], v[204:205], v[192:193]
	v_mul_f64 v[204:205], v[4:5], s[42:43]
	v_fmac_f64_e32 v[200:201], s[12:13], v[12:13]
	v_mul_f64 v[2:3], v[2:3], s[34:35]
	v_add_f64 v[198:199], v[198:199], v[206:207]
	v_fma_f64 v[206:207], s[12:13], v[14:15], v[204:205]
	v_add_f64 v[190:191], v[200:201], v[190:191]
	v_fma_f64 v[200:201], v[14:15], s[12:13], -v[204:205]
	v_fma_f64 v[204:205], v[12:13], s[30:31], -v[2:3]
	v_mul_f64 v[4:5], v[4:5], s[34:35]
	v_add_f64 v[194:195], v[204:205], v[194:195]
	v_fma_f64 v[204:205], s[30:31], v[14:15], v[4:5]
	v_fmac_f64_e32 v[2:3], s[30:31], v[12:13]
	v_fma_f64 v[4:5], v[14:15], s[30:31], -v[4:5]
	v_add_f64 v[14:15], v[172:173], -v[176:177]
	v_add_f64 v[2:3], v[2:3], v[6:7]
	v_add_f64 v[6:7], v[174:175], v[178:179]
	;; [unrolled: 1-line block ×3, first 2 shown]
	v_mul_f64 v[172:173], v[14:15], s[42:43]
	v_add_f64 v[4:5], v[4:5], v[8:9]
	v_add_f64 v[8:9], v[174:175], -v[178:179]
	v_fma_f64 v[174:175], v[6:7], s[12:13], -v[172:173]
	v_add_f64 v[22:23], v[174:175], v[22:23]
	v_mul_f64 v[174:175], v[8:9], s[42:43]
	v_fmac_f64_e32 v[172:173], s[12:13], v[6:7]
	v_add_f64 v[10:11], v[172:173], v[10:11]
	v_fma_f64 v[172:173], v[12:13], s[12:13], -v[174:175]
	v_add_f64 v[18:19], v[172:173], v[18:19]
	v_mul_f64 v[172:173], v[14:15], s[40:41]
	v_fma_f64 v[176:177], s[12:13], v[12:13], v[174:175]
	v_fma_f64 v[174:175], v[6:7], s[36:37], -v[172:173]
	v_add_f64 v[28:29], v[174:175], v[28:29]
	v_mul_f64 v[174:175], v[8:9], s[40:41]
	v_fmac_f64_e32 v[172:173], s[36:37], v[6:7]
	v_add_f64 v[20:21], v[172:173], v[20:21]
	v_fma_f64 v[172:173], v[12:13], s[36:37], -v[174:175]
	v_add_f64 v[26:27], v[172:173], v[26:27]
	v_mul_f64 v[172:173], v[14:15], s[52:53]
	v_add_f64 v[24:25], v[176:177], v[24:25]
	v_fma_f64 v[176:177], s[36:37], v[12:13], v[174:175]
	v_fma_f64 v[174:175], v[6:7], s[14:15], -v[172:173]
	v_add_f64 v[36:37], v[174:175], v[36:37]
	v_mul_f64 v[174:175], v[8:9], s[52:53]
	v_fmac_f64_e32 v[172:173], s[14:15], v[6:7]
	v_add_f64 v[30:31], v[172:173], v[30:31]
	v_fma_f64 v[172:173], v[12:13], s[14:15], -v[174:175]
	v_add_f64 v[34:35], v[172:173], v[34:35]
	v_mul_f64 v[172:173], v[14:15], s[44:45]
	v_add_f64 v[32:33], v[176:177], v[32:33]
	;; [unrolled: 10-line block ×3, first 2 shown]
	v_fma_f64 v[178:179], s[26:27], v[12:13], v[174:175]
	v_fma_f64 v[174:175], v[6:7], s[18:19], -v[172:173]
	v_mul_f64 v[180:181], v[8:9], s[2:3]
	v_fmac_f64_e32 v[172:173], s[18:19], v[6:7]
	v_add_f64 v[42:43], v[172:173], v[42:43]
	v_fma_f64 v[172:173], v[12:13], s[18:19], -v[180:181]
	v_add_f64 v[138:139], v[172:173], v[138:139]
	v_mul_f64 v[172:173], v[14:15], s[34:35]
	v_add_f64 v[178:179], v[178:179], v[182:183]
	v_add_f64 v[174:175], v[174:175], v[184:185]
	v_fma_f64 v[182:183], s[18:19], v[12:13], v[180:181]
	v_fma_f64 v[180:181], v[6:7], s[30:31], -v[172:173]
	v_mul_f64 v[184:185], v[8:9], s[34:35]
	v_fmac_f64_e32 v[172:173], s[30:31], v[6:7]
	v_add_f64 v[180:181], v[180:181], v[188:189]
	v_fma_f64 v[188:189], s[30:31], v[12:13], v[184:185]
	v_add_f64 v[172:173], v[172:173], v[186:187]
	v_fma_f64 v[184:185], v[12:13], s[30:31], -v[184:185]
	v_mul_f64 v[186:187], v[14:15], s[56:57]
	v_add_f64 v[184:185], v[184:185], v[196:197]
	v_fma_f64 v[196:197], v[6:7], s[20:21], -v[186:187]
	v_add_f64 v[192:193], v[196:197], v[192:193]
	v_mul_f64 v[196:197], v[8:9], s[56:57]
	v_fmac_f64_e32 v[186:187], s[20:21], v[6:7]
	v_mul_f64 v[14:15], v[14:15], s[46:47]
	v_add_f64 v[182:183], v[182:183], v[198:199]
	v_fma_f64 v[198:199], s[20:21], v[12:13], v[196:197]
	v_add_f64 v[186:187], v[186:187], v[190:191]
	v_fma_f64 v[190:191], v[12:13], s[20:21], -v[196:197]
	v_fma_f64 v[196:197], v[6:7], s[22:23], -v[14:15]
	v_mul_f64 v[8:9], v[8:9], s[46:47]
	v_fmac_f64_e32 v[14:15], s[22:23], v[6:7]
	v_add_f64 v[2:3], v[14:15], v[2:3]
	v_fma_f64 v[6:7], v[12:13], s[22:23], -v[8:9]
	v_add_f64 v[14:15], v[164:165], -v[168:169]
	v_add_f64 v[194:195], v[196:197], v[194:195]
	v_fma_f64 v[196:197], s[22:23], v[12:13], v[8:9]
	v_add_f64 v[4:5], v[6:7], v[4:5]
	v_add_f64 v[6:7], v[166:167], v[170:171]
	;; [unrolled: 1-line block ×3, first 2 shown]
	v_mul_f64 v[164:165], v[14:15], s[16:17]
	v_add_f64 v[12:13], v[166:167], -v[170:171]
	v_fma_f64 v[166:167], v[6:7], s[14:15], -v[164:165]
	v_add_f64 v[22:23], v[166:167], v[22:23]
	v_mul_f64 v[166:167], v[12:13], s[16:17]
	v_fmac_f64_e32 v[164:165], s[14:15], v[6:7]
	v_add_f64 v[10:11], v[164:165], v[10:11]
	v_fma_f64 v[164:165], v[8:9], s[14:15], -v[166:167]
	v_add_f64 v[18:19], v[164:165], v[18:19]
	v_mul_f64 v[164:165], v[14:15], s[54:55]
	v_fma_f64 v[168:169], s[14:15], v[8:9], v[166:167]
	v_fma_f64 v[166:167], v[6:7], s[30:31], -v[164:165]
	v_add_f64 v[28:29], v[166:167], v[28:29]
	v_mul_f64 v[166:167], v[12:13], s[54:55]
	v_fmac_f64_e32 v[164:165], s[30:31], v[6:7]
	v_add_f64 v[20:21], v[164:165], v[20:21]
	v_fma_f64 v[164:165], v[8:9], s[30:31], -v[166:167]
	v_add_f64 v[26:27], v[164:165], v[26:27]
	v_mul_f64 v[164:165], v[14:15], s[46:47]
	v_add_f64 v[24:25], v[168:169], v[24:25]
	v_fma_f64 v[168:169], s[30:31], v[8:9], v[166:167]
	v_fma_f64 v[166:167], v[6:7], s[22:23], -v[164:165]
	v_add_f64 v[36:37], v[166:167], v[36:37]
	v_mul_f64 v[166:167], v[12:13], s[46:47]
	v_fmac_f64_e32 v[164:165], s[22:23], v[6:7]
	v_add_f64 v[30:31], v[164:165], v[30:31]
	v_fma_f64 v[164:165], v[8:9], s[22:23], -v[166:167]
	v_add_f64 v[34:35], v[164:165], v[34:35]
	v_mul_f64 v[164:165], v[14:15], s[2:3]
	v_add_f64 v[32:33], v[168:169], v[32:33]
	v_fma_f64 v[168:169], s[22:23], v[8:9], v[166:167]
	v_fma_f64 v[166:167], v[6:7], s[18:19], -v[164:165]
	v_add_f64 v[40:41], v[166:167], v[40:41]
	v_mul_f64 v[166:167], v[12:13], s[2:3]
	v_fmac_f64_e32 v[164:165], s[18:19], v[6:7]
	v_add_f64 v[38:39], v[164:165], v[38:39]
	v_fma_f64 v[164:165], v[8:9], s[18:19], -v[166:167]
	v_add_f64 v[136:137], v[164:165], v[136:137]
	v_mul_f64 v[164:165], v[14:15], s[40:41]
	v_fma_f64 v[170:171], s[18:19], v[8:9], v[166:167]
	v_fma_f64 v[166:167], v[6:7], s[36:37], -v[164:165]
	v_add_f64 v[166:167], v[166:167], v[174:175]
	v_mul_f64 v[174:175], v[12:13], s[40:41]
	v_fmac_f64_e32 v[164:165], s[36:37], v[6:7]
	v_add_f64 v[42:43], v[164:165], v[42:43]
	v_fma_f64 v[164:165], v[8:9], s[36:37], -v[174:175]
	v_add_f64 v[138:139], v[164:165], v[138:139]
	v_mul_f64 v[164:165], v[14:15], s[48:49]
	v_add_f64 v[168:169], v[168:169], v[176:177]
	v_add_f64 v[170:171], v[170:171], v[178:179]
	v_fma_f64 v[176:177], s[36:37], v[8:9], v[174:175]
	v_fma_f64 v[174:175], v[6:7], s[12:13], -v[164:165]
	v_mul_f64 v[178:179], v[12:13], s[48:49]
	v_fmac_f64_e32 v[164:165], s[12:13], v[6:7]
	v_add_f64 v[174:175], v[174:175], v[180:181]
	v_fma_f64 v[180:181], s[12:13], v[8:9], v[178:179]
	v_add_f64 v[164:165], v[164:165], v[172:173]
	v_fma_f64 v[172:173], v[8:9], s[12:13], -v[178:179]
	v_mul_f64 v[178:179], v[14:15], s[38:39]
	v_add_f64 v[208:209], v[208:209], v[216:217]
	v_add_f64 v[202:203], v[202:203], v[210:211]
	;; [unrolled: 1-line block ×3, first 2 shown]
	v_fma_f64 v[182:183], v[6:7], s[26:27], -v[178:179]
	v_fmac_f64_e32 v[178:179], s[26:27], v[6:7]
	v_mul_f64 v[14:15], v[14:15], s[24:25]
	v_add_f64 v[200:201], v[200:201], v[208:209]
	v_add_f64 v[188:189], v[188:189], v[202:203]
	;; [unrolled: 1-line block ×3, first 2 shown]
	v_mul_f64 v[184:185], v[12:13], s[38:39]
	v_add_f64 v[178:179], v[178:179], v[186:187]
	v_fma_f64 v[186:187], v[6:7], s[20:21], -v[14:15]
	v_mul_f64 v[12:13], v[12:13], s[24:25]
	v_fmac_f64_e32 v[14:15], s[20:21], v[6:7]
	v_add_f64 v[190:191], v[190:191], v[200:201]
	v_add_f64 v[180:181], v[180:181], v[188:189]
	v_fma_f64 v[188:189], s[26:27], v[8:9], v[184:185]
	v_fma_f64 v[184:185], v[8:9], s[26:27], -v[184:185]
	v_add_f64 v[2:3], v[14:15], v[2:3]
	v_fma_f64 v[6:7], v[8:9], s[20:21], -v[12:13]
	v_add_f64 v[14:15], v[156:157], -v[160:161]
	v_add_f64 v[184:185], v[184:185], v[190:191]
	v_fma_f64 v[190:191], s[20:21], v[8:9], v[12:13]
	v_add_f64 v[4:5], v[6:7], v[4:5]
	v_add_f64 v[6:7], v[158:159], v[162:163]
	;; [unrolled: 1-line block ×3, first 2 shown]
	v_mul_f64 v[156:157], v[14:15], s[24:25]
	v_add_f64 v[12:13], v[158:159], -v[162:163]
	v_fma_f64 v[158:159], v[6:7], s[20:21], -v[156:157]
	v_add_f64 v[22:23], v[158:159], v[22:23]
	v_mul_f64 v[158:159], v[12:13], s[24:25]
	v_fmac_f64_e32 v[156:157], s[20:21], v[6:7]
	v_add_f64 v[10:11], v[156:157], v[10:11]
	v_fma_f64 v[156:157], v[8:9], s[20:21], -v[158:159]
	v_add_f64 v[18:19], v[156:157], v[18:19]
	v_mul_f64 v[156:157], v[14:15], s[52:53]
	v_fma_f64 v[160:161], s[20:21], v[8:9], v[158:159]
	v_fma_f64 v[158:159], v[6:7], s[14:15], -v[156:157]
	v_add_f64 v[28:29], v[158:159], v[28:29]
	v_mul_f64 v[158:159], v[12:13], s[52:53]
	v_fmac_f64_e32 v[156:157], s[14:15], v[6:7]
	v_add_f64 v[20:21], v[156:157], v[20:21]
	v_fma_f64 v[156:157], v[8:9], s[14:15], -v[158:159]
	v_add_f64 v[26:27], v[156:157], v[26:27]
	v_mul_f64 v[156:157], v[14:15], s[38:39]
	v_add_f64 v[24:25], v[160:161], v[24:25]
	v_fma_f64 v[160:161], s[14:15], v[8:9], v[158:159]
	v_fma_f64 v[158:159], v[6:7], s[26:27], -v[156:157]
	v_add_f64 v[36:37], v[158:159], v[36:37]
	v_mul_f64 v[158:159], v[12:13], s[38:39]
	v_fmac_f64_e32 v[156:157], s[26:27], v[6:7]
	v_add_f64 v[30:31], v[156:157], v[30:31]
	v_fma_f64 v[156:157], v[8:9], s[26:27], -v[158:159]
	v_add_f64 v[34:35], v[156:157], v[34:35]
	v_mul_f64 v[156:157], v[14:15], s[34:35]
	v_add_f64 v[32:33], v[160:161], v[32:33]
	v_fma_f64 v[160:161], s[26:27], v[8:9], v[158:159]
	v_fma_f64 v[158:159], v[6:7], s[30:31], -v[156:157]
	v_add_f64 v[40:41], v[158:159], v[40:41]
	v_mul_f64 v[158:159], v[12:13], s[34:35]
	v_fmac_f64_e32 v[156:157], s[30:31], v[6:7]
	v_add_f64 v[38:39], v[156:157], v[38:39]
	v_fma_f64 v[156:157], v[8:9], s[30:31], -v[158:159]
	v_add_f64 v[136:137], v[156:157], v[136:137]
	v_mul_f64 v[156:157], v[14:15], s[48:49]
	v_fma_f64 v[162:163], s[30:31], v[8:9], v[158:159]
	v_fma_f64 v[158:159], v[6:7], s[12:13], -v[156:157]
	v_add_f64 v[158:159], v[158:159], v[166:167]
	v_mul_f64 v[166:167], v[12:13], s[48:49]
	v_fmac_f64_e32 v[156:157], s[12:13], v[6:7]
	v_add_f64 v[42:43], v[156:157], v[42:43]
	v_fma_f64 v[156:157], v[8:9], s[12:13], -v[166:167]
	v_add_f64 v[138:139], v[156:157], v[138:139]
	v_mul_f64 v[156:157], v[14:15], s[50:51]
	v_add_f64 v[160:161], v[160:161], v[168:169]
	v_add_f64 v[162:163], v[162:163], v[170:171]
	v_fma_f64 v[168:169], s[12:13], v[8:9], v[166:167]
	v_fma_f64 v[166:167], v[6:7], s[22:23], -v[156:157]
	v_mul_f64 v[170:171], v[12:13], s[50:51]
	v_fmac_f64_e32 v[156:157], s[22:23], v[6:7]
	v_add_f64 v[214:215], v[220:221], v[214:215]
	v_add_f64 v[166:167], v[166:167], v[174:175]
	v_fma_f64 v[174:175], s[22:23], v[8:9], v[170:171]
	v_add_f64 v[156:157], v[156:157], v[164:165]
	v_fma_f64 v[164:165], v[8:9], s[22:23], -v[170:171]
	v_mul_f64 v[170:171], v[14:15], s[40:41]
	v_add_f64 v[206:207], v[206:207], v[214:215]
	v_add_f64 v[164:165], v[164:165], v[172:173]
	v_fma_f64 v[172:173], v[6:7], s[36:37], -v[170:171]
	v_fmac_f64_e32 v[170:171], s[36:37], v[6:7]
	v_mul_f64 v[14:15], v[14:15], s[28:29]
	v_add_f64 v[198:199], v[198:199], v[206:207]
	v_add_f64 v[168:169], v[168:169], v[176:177]
	v_mul_f64 v[176:177], v[12:13], s[40:41]
	v_add_f64 v[170:171], v[170:171], v[178:179]
	v_fma_f64 v[178:179], v[6:7], s[18:19], -v[14:15]
	v_mul_f64 v[12:13], v[12:13], s[28:29]
	v_fmac_f64_e32 v[14:15], s[18:19], v[6:7]
	v_add_f64 v[188:189], v[188:189], v[198:199]
	v_add_f64 v[198:199], v[14:15], v[2:3]
	v_fma_f64 v[2:3], v[8:9], s[18:19], -v[12:13]
	v_add_f64 v[208:209], v[148:149], -v[152:153]
	v_add_f64 v[212:213], v[212:213], v[218:219]
	v_add_f64 v[200:201], v[2:3], v[4:5]
	;; [unrolled: 1-line block ×3, first 2 shown]
	v_mul_f64 v[2:3], v[208:209], s[34:35]
	v_add_f64 v[204:205], v[204:205], v[212:213]
	v_add_f64 v[206:207], v[150:151], -v[154:155]
	v_fma_f64 v[4:5], v[202:203], s[30:31], -v[2:3]
	v_add_f64 v[196:197], v[196:197], v[204:205]
	v_add_f64 v[204:205], v[148:149], v[152:153]
	;; [unrolled: 1-line block ×3, first 2 shown]
	v_mul_f64 v[4:5], v[206:207], s[34:35]
	v_fmac_f64_e32 v[2:3], s[30:31], v[202:203]
	v_add_f64 v[210:211], v[2:3], v[10:11]
	v_fma_f64 v[2:3], v[204:205], s[30:31], -v[4:5]
	v_add_f64 v[18:19], v[2:3], v[18:19]
	v_mul_f64 v[2:3], v[208:209], s[28:29]
	v_fma_f64 v[6:7], s[30:31], v[204:205], v[4:5]
	v_fma_f64 v[4:5], v[202:203], s[18:19], -v[2:3]
	v_add_f64 v[28:29], v[4:5], v[28:29]
	v_mul_f64 v[4:5], v[206:207], s[28:29]
	v_fmac_f64_e32 v[2:3], s[18:19], v[202:203]
	v_add_f64 v[182:183], v[182:183], v[192:193]
	v_add_f64 v[192:193], v[2:3], v[20:21]
	v_fma_f64 v[2:3], v[204:205], s[18:19], -v[4:5]
	v_add_f64 v[186:187], v[186:187], v[194:195]
	v_add_f64 v[194:195], v[2:3], v[26:27]
	v_mul_f64 v[2:3], v[208:209], s[42:43]
	v_add_f64 v[24:25], v[6:7], v[24:25]
	v_fma_f64 v[6:7], s[18:19], v[204:205], v[4:5]
	v_fma_f64 v[4:5], v[202:203], s[12:13], -v[2:3]
	v_add_f64 v[190:191], v[190:191], v[196:197]
	v_add_f64 v[174:175], v[174:175], v[180:181]
	v_fma_f64 v[180:181], s[36:37], v[8:9], v[176:177]
	v_add_f64 v[196:197], v[4:5], v[36:37]
	v_mul_f64 v[4:5], v[206:207], s[42:43]
	v_fmac_f64_e32 v[2:3], s[12:13], v[202:203]
	v_add_f64 v[180:181], v[180:181], v[188:189]
	v_add_f64 v[188:189], v[2:3], v[30:31]
	v_fma_f64 v[2:3], v[204:205], s[12:13], -v[4:5]
	v_add_f64 v[178:179], v[178:179], v[186:187]
	v_add_f64 v[186:187], v[2:3], v[34:35]
	v_mul_f64 v[2:3], v[208:209], s[56:57]
	v_add_f64 v[32:33], v[6:7], v[32:33]
	v_fma_f64 v[6:7], s[12:13], v[204:205], v[4:5]
	v_fma_f64 v[4:5], v[202:203], s[20:21], -v[2:3]
	v_add_f64 v[148:149], v[4:5], v[40:41]
	v_mul_f64 v[4:5], v[206:207], s[56:57]
	v_fmac_f64_e32 v[2:3], s[20:21], v[202:203]
	v_add_f64 v[154:155], v[2:3], v[38:39]
	v_fma_f64 v[2:3], v[204:205], s[20:21], -v[4:5]
	v_add_f64 v[172:173], v[172:173], v[182:183]
	v_fma_f64 v[182:183], s[18:19], v[8:9], v[12:13]
	v_add_f64 v[152:153], v[2:3], v[136:137]
	v_mul_f64 v[2:3], v[208:209], s[38:39]
	v_add_f64 v[182:183], v[182:183], v[190:191]
	v_add_f64 v[190:191], v[6:7], v[160:161]
	v_fma_f64 v[6:7], s[20:21], v[204:205], v[4:5]
	v_fma_f64 v[4:5], v[202:203], s[26:27], -v[2:3]
	v_add_f64 v[14:15], v[4:5], v[158:159]
	v_mul_f64 v[4:5], v[206:207], s[38:39]
	v_fmac_f64_e32 v[2:3], s[26:27], v[202:203]
	v_add_f64 v[10:11], v[2:3], v[42:43]
	v_fma_f64 v[2:3], v[204:205], s[26:27], -v[4:5]
	v_fma_f64 v[176:177], v[8:9], s[36:37], -v[176:177]
	v_add_f64 v[8:9], v[2:3], v[138:139]
	v_mul_f64 v[2:3], v[208:209], s[40:41]
	v_add_f64 v[150:151], v[6:7], v[162:163]
	v_fma_f64 v[6:7], s[26:27], v[204:205], v[4:5]
	v_fma_f64 v[4:5], v[202:203], s[36:37], -v[2:3]
	v_mul_f64 v[20:21], v[206:207], s[40:41]
	v_add_f64 v[12:13], v[6:7], v[168:169]
	v_add_f64 v[6:7], v[4:5], v[166:167]
	v_fma_f64 v[4:5], s[36:37], v[204:205], v[20:21]
	v_fma_f64 v[20:21], v[204:205], s[36:37], -v[20:21]
	v_add_f64 v[176:177], v[176:177], v[184:185]
	v_add_f64 v[184:185], v[20:21], v[164:165]
	v_mul_f64 v[20:21], v[208:209], s[46:47]
	v_fma_f64 v[26:27], v[202:203], s[22:23], -v[20:21]
	v_add_f64 v[4:5], v[4:5], v[174:175]
	v_add_f64 v[174:175], v[26:27], v[172:173]
	v_mul_f64 v[26:27], v[206:207], s[46:47]
	v_fmac_f64_e32 v[20:21], s[22:23], v[202:203]
	v_add_f64 v[166:167], v[20:21], v[170:171]
	v_fma_f64 v[20:21], v[204:205], s[22:23], -v[26:27]
	v_add_f64 v[164:165], v[20:21], v[176:177]
	v_mul_f64 v[20:21], v[208:209], s[16:17]
	v_fma_f64 v[30:31], s[22:23], v[204:205], v[26:27]
	v_fma_f64 v[26:27], v[202:203], s[14:15], -v[20:21]
	v_add_f64 v[162:163], v[26:27], v[178:179]
	v_mul_f64 v[26:27], v[206:207], s[16:17]
	v_fmac_f64_e32 v[20:21], s[14:15], v[202:203]
	v_fmac_f64_e32 v[2:3], s[36:37], v[202:203]
	v_add_f64 v[158:159], v[20:21], v[198:199]
	v_fma_f64 v[20:21], v[204:205], s[14:15], -v[26:27]
	v_add_f64 v[178:179], v[140:141], -v[144:145]
	v_add_f64 v[2:3], v[2:3], v[156:157]
	v_add_f64 v[156:157], v[20:21], v[200:201]
	v_add_f64 v[170:171], v[142:143], v[146:147]
	v_mul_f64 v[20:21], v[178:179], s[40:41]
	v_add_f64 v[172:173], v[30:31], v[180:181]
	v_fma_f64 v[30:31], s[14:15], v[204:205], v[26:27]
	v_add_f64 v[176:177], v[142:143], -v[146:147]
	v_fma_f64 v[26:27], v[170:171], s[36:37], -v[20:21]
	v_add_f64 v[168:169], v[140:141], v[144:145]
	v_add_f64 v[136:137], v[26:27], v[22:23]
	v_mul_f64 v[22:23], v[176:177], s[40:41]
	v_fmac_f64_e32 v[20:21], s[36:37], v[170:171]
	v_add_f64 v[180:181], v[20:21], v[210:211]
	v_fma_f64 v[20:21], v[168:169], s[36:37], -v[22:23]
	v_add_f64 v[160:161], v[30:31], v[182:183]
	v_add_f64 v[182:183], v[20:21], v[18:19]
	v_mul_f64 v[18:19], v[178:179], s[44:45]
	v_fma_f64 v[20:21], v[170:171], s[26:27], -v[18:19]
	v_add_f64 v[140:141], v[20:21], v[28:29]
	v_mul_f64 v[20:21], v[176:177], s[44:45]
	v_fmac_f64_e32 v[18:19], s[26:27], v[170:171]
	v_add_f64 v[192:193], v[18:19], v[192:193]
	v_fma_f64 v[18:19], v[168:169], s[26:27], -v[20:21]
	v_add_f64 v[194:195], v[18:19], v[194:195]
	v_mul_f64 v[18:19], v[178:179], s[34:35]
	v_fma_f64 v[26:27], s[36:37], v[168:169], v[22:23]
	v_fma_f64 v[22:23], s[26:27], v[168:169], v[20:21]
	v_fma_f64 v[20:21], v[170:171], s[30:31], -v[18:19]
	v_add_f64 v[144:145], v[20:21], v[196:197]
	v_mul_f64 v[20:21], v[176:177], s[34:35]
	v_fmac_f64_e32 v[18:19], s[30:31], v[170:171]
	v_add_f64 v[200:201], v[18:19], v[188:189]
	v_fma_f64 v[18:19], v[168:169], s[30:31], -v[20:21]
	v_add_f64 v[202:203], v[18:19], v[186:187]
	v_mul_f64 v[18:19], v[178:179], s[46:47]
	v_add_f64 v[142:143], v[22:23], v[32:33]
	v_fma_f64 v[22:23], s[30:31], v[168:169], v[20:21]
	v_fma_f64 v[20:21], v[170:171], s[22:23], -v[18:19]
	v_add_f64 v[148:149], v[20:21], v[148:149]
	v_mul_f64 v[20:21], v[176:177], s[46:47]
	v_fmac_f64_e32 v[18:19], s[22:23], v[170:171]
	v_add_f64 v[208:209], v[18:19], v[154:155]
	v_fma_f64 v[18:19], v[168:169], s[22:23], -v[20:21]
	v_add_f64 v[210:211], v[18:19], v[152:153]
	v_mul_f64 v[18:19], v[178:179], s[24:25]
	v_add_f64 v[146:147], v[22:23], v[190:191]
	v_fma_f64 v[22:23], s[22:23], v[168:169], v[20:21]
	v_fma_f64 v[20:21], v[170:171], s[20:21], -v[18:19]
	v_add_f64 v[152:153], v[20:21], v[14:15]
	v_mul_f64 v[14:15], v[176:177], s[24:25]
	v_fmac_f64_e32 v[18:19], s[20:21], v[170:171]
	v_add_f64 v[196:197], v[18:19], v[10:11]
	v_fma_f64 v[10:11], v[168:169], s[20:21], -v[14:15]
	v_fma_f64 v[20:21], s[20:21], v[168:169], v[14:15]
	v_add_f64 v[198:199], v[10:11], v[8:9]
	v_mul_f64 v[10:11], v[178:179], s[28:29]
	v_add_f64 v[154:155], v[20:21], v[12:13]
	v_fma_f64 v[8:9], v[170:171], s[18:19], -v[10:11]
	v_mul_f64 v[12:13], v[176:177], s[28:29]
	v_add_f64 v[6:7], v[8:9], v[6:7]
	v_fma_f64 v[8:9], s[18:19], v[168:169], v[12:13]
	v_fmac_f64_e32 v[10:11], s[18:19], v[170:171]
	v_mul_f64 v[14:15], v[178:179], s[16:17]
	v_mul_f64 v[18:19], v[176:177], s[16:17]
	v_add_f64 v[8:9], v[8:9], v[4:5]
	v_add_f64 v[2:3], v[10:11], v[2:3]
	v_fma_f64 v[4:5], v[168:169], s[18:19], -v[12:13]
	v_fma_f64 v[10:11], v[170:171], s[14:15], -v[14:15]
	v_fma_f64 v[12:13], s[14:15], v[168:169], v[18:19]
	v_fmac_f64_e32 v[14:15], s[14:15], v[170:171]
	v_add_f64 v[12:13], v[12:13], v[172:173]
	v_add_f64 v[172:173], v[14:15], v[166:167]
	v_fma_f64 v[14:15], v[168:169], s[14:15], -v[18:19]
	v_add_f64 v[10:11], v[10:11], v[174:175]
	v_add_f64 v[174:175], v[14:15], v[164:165]
	v_mul_f64 v[14:15], v[178:179], s[48:49]
	v_fma_f64 v[18:19], v[170:171], s[12:13], -v[14:15]
	v_add_f64 v[162:163], v[18:19], v[162:163]
	v_mul_f64 v[18:19], v[176:177], s[48:49]
	v_fmac_f64_e32 v[14:15], s[12:13], v[170:171]
	v_fma_f64 v[20:21], s[12:13], v[168:169], v[18:19]
	v_add_f64 v[158:159], v[14:15], v[158:159]
	v_fma_f64 v[14:15], v[168:169], s[12:13], -v[18:19]
	v_add_f64 v[138:139], v[26:27], v[24:25]
	v_add_f64 v[150:151], v[22:23], v[150:151]
	;; [unrolled: 1-line block ×5, first 2 shown]
	ds_write_b128 v17, v[132:135]
	ds_write_b128 v17, v[136:139] offset:272
	ds_write_b128 v17, v[140:143] offset:544
	;; [unrolled: 1-line block ×16, first 2 shown]
	s_waitcnt lgkmcnt(0)
	s_barrier
	ds_read_b128 v[212:215], v0
	ds_read_b128 v[204:207], v0 offset:1632
	ds_read_b128 v[184:187], v0 offset:4624
	;; [unrolled: 1-line block ×11, first 2 shown]
	s_load_dwordx2 s[2:3], s[0:1], 0x38
	s_movk_i32 s0, 0x55
	v_cmp_gt_u16_e32 vcc, s0, v44
                                        ; implicit-def: $vgpr216_vgpr217
	s_and_saveexec_b64 s[0:1], vcc
	s_cbranch_execz .LBB0_3
; %bb.2:
	ds_read_b128 v[196:199], v0 offset:3264
	ds_read_b128 v[208:211], v0 offset:7888
	;; [unrolled: 1-line block ×6, first 2 shown]
.LBB0_3:
	s_or_b64 exec, exec, s[0:1]
	v_accvgpr_read_b32 v14, a0
	s_movk_i32 s0, 0x50
	v_mov_b64_e32 v[2:3], s[10:11]
	v_mad_u64_u32 v[2:3], s[0:1], v14, s0, v[2:3]
	v_add_co_u32_e64 v6, s[0:1], s33, v2
	s_mov_b64 s[12:13], 0x1100
	s_nop 0
	v_addc_co_u32_e64 v7, s[0:1], 0, v3, s[0:1]
	v_lshl_add_u64 v[4:5], v[2:3], 0, s[12:13]
	global_load_dwordx4 v[140:143], v[6:7], off offset:256
	global_load_dwordx4 v[132:135], v[4:5], off offset:48
	;; [unrolled: 1-line block ×4, first 2 shown]
	s_mov_b64 s[0:1], 0x30e0
	v_add_u32_e32 v1, 0xcc, v14
	s_waitcnt vmcnt(3) lgkmcnt(0)
	v_mul_f64 v[4:5], v[186:187], v[142:143]
	v_fma_f64 v[220:221], v[184:185], v[140:141], -v[4:5]
	s_waitcnt vmcnt(2)
	v_mul_f64 v[236:237], v[160:161], v[134:135]
	s_waitcnt vmcnt(0)
	v_mul_f64 v[4:5], v[178:179], v[154:155]
	v_fma_f64 v[228:229], v[176:177], v[152:153], -v[4:5]
	v_mul_f64 v[4:5], v[174:175], v[146:147]
	v_fma_f64 v[224:225], v[172:173], v[144:145], -v[4:5]
	;; [unrolled: 2-line block ×3, first 2 shown]
	v_fmac_f64_e32 v[236:237], v[162:163], v[132:133]
	global_load_dwordx4 v[160:163], v[6:7], off offset:320
	v_mul_f64 v[222:223], v[184:185], v[142:143]
	v_mul_f64 v[230:231], v[176:177], v[154:155]
	;; [unrolled: 1-line block ×3, first 2 shown]
	v_fmac_f64_e32 v[222:223], v[186:187], v[140:141]
	v_fmac_f64_e32 v[230:231], v[178:179], v[152:153]
	v_fmac_f64_e32 v[226:227], v[174:175], v[144:145]
	v_add_f64 v[20:21], v[228:229], v[232:233]
	v_add_f64 v[24:25], v[230:231], v[236:237]
	s_waitcnt vmcnt(0)
	v_mul_f64 v[4:5], v[170:171], v[162:163]
	v_fma_f64 v[234:235], v[168:169], v[160:161], -v[4:5]
	v_lshl_add_u64 v[4:5], v[2:3], 0, s[0:1]
	v_add_co_u32_e64 v10, s[0:1], s60, v2
	v_mul_f64 v[238:239], v[168:169], v[162:163]
	s_nop 0
	v_addc_co_u32_e64 v11, s[0:1], 0, v3, s[0:1]
	v_fmac_f64_e32 v[238:239], v[170:171], v[160:161]
	global_load_dwordx4 v[176:179], v[10:11], off offset:224
	global_load_dwordx4 v[168:171], v[4:5], off offset:48
	;; [unrolled: 1-line block ×4, first 2 shown]
	v_add_f64 v[28:29], v[224:225], v[234:235]
	v_add_f64 v[32:33], v[226:227], v[238:239]
	s_waitcnt vmcnt(3)
	v_mul_f64 v[2:3], v[190:191], v[178:179]
	v_mul_f64 v[242:243], v[188:189], v[178:179]
	v_fma_f64 v[240:241], v[188:189], v[176:177], -v[2:3]
	v_fmac_f64_e32 v[242:243], v[190:191], v[176:177]
	global_load_dwordx4 v[188:191], v[10:11], off offset:288
	s_waitcnt vmcnt(2)
	v_mul_f64 v[4:5], v[158:159], v[174:175]
	v_fma_f64 v[246:247], v[156:157], v[172:173], -v[4:5]
	v_mul_f64 v[4:5], v[150:151], v[170:171]
	v_fma_f64 v[6:7], v[148:149], v[168:169], -v[4:5]
	s_waitcnt vmcnt(1)
	v_mul_f64 v[2:3], v[166:167], v[186:187]
	v_fma_f64 v[252:253], v[164:165], v[184:185], -v[2:3]
	v_mul_f64 v[2:3], v[164:165], v[186:187]
	v_mul_f64 v[248:249], v[156:157], v[174:175]
	;; [unrolled: 1-line block ×3, first 2 shown]
	v_fmac_f64_e32 v[2:3], v[166:167], v[184:185]
	v_fmac_f64_e32 v[248:249], v[158:159], v[172:173]
	v_fmac_f64_e32 v[8:9], v[150:151], v[168:169]
	s_waitcnt vmcnt(0)
	v_mul_f64 v[4:5], v[138:139], v[190:191]
	v_fma_f64 v[10:11], v[136:137], v[188:189], -v[4:5]
	v_add_u32_e32 v4, 0xffffffab, v14
	v_cndmask_b32_e32 v1, v4, v1, vcc
	v_mul_hi_i32_i24_e32 v5, 0x50, v1
	v_mul_i32_i24_e32 v4, 0x50, v1
	v_lshl_add_u64 v[4:5], s[10:11], 0, v[4:5]
	v_add_co_u32_e64 v18, s[0:1], s33, v4
	v_mul_f64 v[12:13], v[136:137], v[190:191]
	s_nop 0
	v_addc_co_u32_e64 v19, s[0:1], 0, v5, s[0:1]
	v_fmac_f64_e32 v[12:13], v[138:139], v[188:189]
	v_lshl_add_u64 v[14:15], v[4:5], 0, s[12:13]
	global_load_dwordx4 v[136:139], v[18:19], off offset:256
	global_load_dwordx4 v[156:159], v[14:15], off offset:48
	;; [unrolled: 1-line block ×4, first 2 shown]
	s_mov_b32 s0, 0xe8584caa
	s_mov_b32 s1, 0x3febb67a
	;; [unrolled: 1-line block ×4, first 2 shown]
	s_waitcnt vmcnt(3)
	v_mul_f64 v[4:5], v[210:211], v[138:139]
	v_fma_f64 v[244:245], v[208:209], v[136:137], -v[4:5]
	v_mul_f64 v[250:251], v[208:209], v[138:139]
	s_waitcnt vmcnt(0)
	v_mul_f64 v[4:5], v[202:203], v[166:167]
	v_fma_f64 v[208:209], v[200:201], v[164:165], -v[4:5]
	v_mul_f64 v[4:5], v[194:195], v[150:151]
	v_fmac_f64_e32 v[250:251], v[210:211], v[136:137]
	v_mul_f64 v[210:211], v[200:201], v[166:167]
	v_fma_f64 v[200:201], v[192:193], v[148:149], -v[4:5]
	v_mul_f64 v[4:5], v[182:183], v[158:159]
	v_fmac_f64_e32 v[210:211], v[202:203], v[164:165]
	v_fma_f64 v[202:203], v[180:181], v[156:157], -v[4:5]
	v_mul_f64 v[4:5], v[180:181], v[158:159]
	v_fmac_f64_e32 v[4:5], v[182:183], v[156:157]
	global_load_dwordx4 v[180:183], v[18:19], off offset:320
	v_add_f64 v[18:19], v[212:213], v[228:229]
	v_fmac_f64_e32 v[212:213], -0.5, v[20:21]
	v_add_f64 v[20:21], v[230:231], -v[236:237]
	v_fma_f64 v[22:23], s[0:1], v[20:21], v[212:213]
	v_fmac_f64_e32 v[212:213], s[10:11], v[20:21]
	v_add_f64 v[20:21], v[214:215], v[230:231]
	v_fmac_f64_e32 v[214:215], -0.5, v[24:25]
	v_add_f64 v[24:25], v[228:229], -v[232:233]
	v_fma_f64 v[26:27], s[10:11], v[24:25], v[214:215]
	v_fmac_f64_e32 v[214:215], s[0:1], v[24:25]
	;; [unrolled: 5-line block ×4, first 2 shown]
	v_mul_f64 v[32:33], v[34:35], s[0:1]
	v_fmac_f64_e32 v[32:33], 0.5, v[30:31]
	v_mul_f64 v[30:31], v[30:31], s[10:11]
	v_add_f64 v[20:21], v[20:21], v[236:237]
	v_add_f64 v[28:29], v[28:29], v[238:239]
	v_fmac_f64_e32 v[30:31], 0.5, v[34:35]
	v_mul_f64 v[34:35], v[222:223], -0.5
	v_add_f64 v[18:19], v[18:19], v[232:233]
	v_add_f64 v[24:25], v[24:25], v[234:235]
	;; [unrolled: 1-line block ×4, first 2 shown]
	v_fmac_f64_e32 v[34:35], s[10:11], v[220:221]
	v_add_f64 v[238:239], v[20:21], -v[28:29]
	v_add_f64 v[20:21], v[26:27], -v[30:31]
	v_add_f64 v[26:27], v[204:205], v[252:253]
	v_add_f64 v[224:225], v[18:19], v[24:25]
	v_mul_f64 v[36:37], v[220:221], -0.5
	v_add_f64 v[234:235], v[214:215], v[34:35]
	v_add_f64 v[236:237], v[18:19], -v[24:25]
	v_add_f64 v[24:25], v[214:215], -v[34:35]
	v_add_f64 v[34:35], v[26:27], v[6:7]
	v_add_f64 v[26:27], v[252:253], v[6:7]
	v_fmac_f64_e32 v[36:37], s[0:1], v[222:223]
	v_fmac_f64_e32 v[204:205], -0.5, v[26:27]
	v_add_f64 v[26:27], v[2:3], -v[8:9]
	v_add_f64 v[228:229], v[22:23], v[32:33]
	v_add_f64 v[232:233], v[212:213], v[36:37]
	v_add_f64 v[18:19], v[22:23], -v[32:33]
	v_add_f64 v[22:23], v[212:213], -v[36:37]
	v_fma_f64 v[36:37], s[0:1], v[26:27], v[204:205]
	v_fmac_f64_e32 v[204:205], s[10:11], v[26:27]
	v_add_f64 v[26:27], v[206:207], v[2:3]
	v_add_f64 v[2:3], v[2:3], v[8:9]
	;; [unrolled: 1-line block ×3, first 2 shown]
	v_fmac_f64_e32 v[206:207], -0.5, v[2:3]
	v_add_f64 v[2:3], v[252:253], -v[6:7]
	v_add_f64 v[8:9], v[246:247], v[10:11]
	v_fma_f64 v[6:7], s[10:11], v[2:3], v[206:207]
	v_fmac_f64_e32 v[206:207], s[0:1], v[2:3]
	v_add_f64 v[2:3], v[240:241], v[246:247]
	v_fmac_f64_e32 v[240:241], -0.5, v[8:9]
	v_add_f64 v[8:9], v[248:249], -v[12:13]
	v_fma_f64 v[28:29], s[0:1], v[8:9], v[240:241]
	v_fmac_f64_e32 v[240:241], s[10:11], v[8:9]
	v_add_f64 v[8:9], v[242:243], v[248:249]
	v_add_f64 v[8:9], v[8:9], v[12:13]
	;; [unrolled: 1-line block ×4, first 2 shown]
	v_fmac_f64_e32 v[242:243], -0.5, v[12:13]
	v_add_f64 v[10:11], v[246:247], -v[10:11]
	v_mul_f64 v[254:255], v[192:193], v[150:151]
	v_fma_f64 v[12:13], s[10:11], v[10:11], v[242:243]
	v_fmac_f64_e32 v[242:243], s[0:1], v[10:11]
	v_mul_f64 v[38:39], v[240:241], -0.5
	v_mul_f64 v[42:43], v[28:29], s[10:11]
	v_fmac_f64_e32 v[254:255], v[194:195], v[148:149]
	v_mul_f64 v[10:11], v[12:13], s[0:1]
	v_fmac_f64_e32 v[38:39], s[0:1], v[242:243]
	v_add_f64 v[248:249], v[40:41], v[8:9]
	s_waitcnt vmcnt(0)
	v_mul_f64 v[14:15], v[218:219], v[182:183]
	v_fma_f64 v[14:15], v[216:217], v[180:181], -v[14:15]
	v_mul_f64 v[216:217], v[216:217], v[182:183]
	v_fmac_f64_e32 v[216:217], v[218:219], v[180:181]
	v_fmac_f64_e32 v[42:43], 0.5, v[12:13]
	v_mul_f64 v[12:13], v[242:243], -0.5
	v_add_f64 v[242:243], v[40:41], -v[8:9]
	v_add_f64 v[8:9], v[200:201], v[14:15]
	v_fmac_f64_e32 v[10:11], 0.5, v[28:29]
	v_fma_f64 v[212:213], -0.5, v[8:9], v[244:245]
	v_add_f64 v[220:221], v[254:255], -v[216:217]
	v_add_f64 v[8:9], v[254:255], v[216:217]
	v_add_f64 v[246:247], v[34:35], v[2:3]
	;; [unrolled: 1-line block ×4, first 2 shown]
	v_fmac_f64_e32 v[12:13], s[10:11], v[240:241]
	v_add_f64 v[240:241], v[34:35], -v[2:3]
	v_add_f64 v[34:35], v[36:37], -v[10:11]
	v_add_f64 v[36:37], v[6:7], -v[42:43]
	v_fma_f64 v[42:43], s[10:11], v[220:221], v[212:213]
	v_fma_f64 v[218:219], -0.5, v[8:9], v[250:251]
	v_add_f64 v[222:223], v[200:201], -v[14:15]
	v_add_f64 v[32:33], v[206:207], v[12:13]
	v_add_f64 v[40:41], v[206:207], -v[12:13]
	v_add_f64 v[2:3], v[208:209], v[202:203]
	v_add_f64 v[6:7], v[210:211], v[4:5]
	v_fma_f64 v[12:13], s[0:1], v[222:223], v[218:219]
	v_mul_f64 v[8:9], v[42:43], -0.5
	v_add_f64 v[30:31], v[204:205], v[38:39]
	v_add_f64 v[38:39], v[204:205], -v[38:39]
	v_fma_f64 v[10:11], -0.5, v[2:3], v[196:197]
	v_add_f64 v[206:207], v[210:211], -v[4:5]
	v_fma_f64 v[204:205], -0.5, v[6:7], v[198:199]
	v_add_f64 v[214:215], v[208:209], -v[202:203]
	v_fmac_f64_e32 v[8:9], s[0:1], v[12:13]
	v_mul_f64 v[12:13], v[12:13], -0.5
	v_fma_f64 v[2:3], s[10:11], v[206:207], v[10:11]
	v_fma_f64 v[6:7], s[0:1], v[214:215], v[204:205]
	v_fmac_f64_e32 v[12:13], s[10:11], v[42:43]
	v_add_f64 v[192:193], v[2:3], -v[8:9]
	v_add_f64 v[194:195], v[6:7], -v[12:13]
	ds_write_b128 v0, v[224:227]
	ds_write_b128 v0, v[228:231] offset:4624
	ds_write_b128 v0, v[232:235] offset:9248
	;; [unrolled: 1-line block ×11, first 2 shown]
	s_and_saveexec_b64 s[10:11], vcc
	s_cbranch_execz .LBB0_5
; %bb.4:
	v_mul_f64 v[24:25], v[222:223], s[0:1]
	v_add_f64 v[28:29], v[218:219], -v[24:25]
	v_add_f64 v[24:25], v[198:199], v[210:211]
	v_mul_f64 v[22:23], v[220:221], s[0:1]
	v_add_f64 v[32:33], v[24:25], v[4:5]
	v_add_f64 v[4:5], v[250:251], v[254:255]
	v_mul_f64 v[20:21], v[214:215], s[0:1]
	v_add_f64 v[22:23], v[22:23], v[212:213]
	v_add_f64 v[34:35], v[4:5], v[216:217]
	;; [unrolled: 1-line block ×3, first 2 shown]
	v_add_f64 v[26:27], v[204:205], -v[20:21]
	v_mul_f64 v[20:21], v[22:23], s[0:1]
	v_add_f64 v[38:39], v[4:5], v[202:203]
	v_add_f64 v[4:5], v[244:245], v[200:201]
	v_mul_f64 v[18:19], v[206:207], s[0:1]
	v_fma_f64 v[30:31], v[28:29], 0.5, -v[20:21]
	v_mul_f64 v[28:29], v[28:29], s[0:1]
	v_add_f64 v[40:41], v[4:5], v[14:15]
	v_add_f64 v[36:37], v[18:19], v[10:11]
	v_fmac_f64_e32 v[28:29], 0.5, v[22:23]
	v_add_f64 v[4:5], v[6:7], v[12:13]
	v_add_f64 v[14:15], v[32:33], v[34:35]
	;; [unrolled: 1-line block ×3, first 2 shown]
	v_add_f64 v[20:21], v[26:27], -v[30:31]
	v_add_f64 v[24:25], v[32:33], -v[34:35]
	;; [unrolled: 1-line block ×4, first 2 shown]
	v_add_f64 v[10:11], v[26:27], v[30:31]
	v_add_f64 v[2:3], v[2:3], v[8:9]
	;; [unrolled: 1-line block ×3, first 2 shown]
	ds_write_b128 v0, v[12:15] offset:3264
	ds_write_b128 v0, v[8:11] offset:7888
	;; [unrolled: 1-line block ×6, first 2 shown]
.LBB0_5:
	s_or_b64 exec, exec, s[10:11]
	v_mov_b32_e32 v1, 0
	v_lshl_add_u64 v[252:253], s[8:9], 0, v[0:1]
	s_mov_b64 s[0:1], 0x6c60
	v_lshl_add_u64 v[2:3], v[252:253], 0, s[0:1]
	s_movk_i32 s0, 0x6000
	v_add_co_u32_e64 v4, s[0:1], s0, v252
	s_waitcnt lgkmcnt(0)
	s_nop 0
	v_addc_co_u32_e64 v5, s[0:1], 0, v253, s[0:1]
	s_barrier
	global_load_dwordx4 v[196:199], v[4:5], off offset:3168
	global_load_dwordx4 v[200:203], v[2:3], off offset:1632
	;; [unrolled: 1-line block ×3, first 2 shown]
	s_movk_i32 s0, 0x7000
	v_add_co_u32_e64 v2, s[0:1], s0, v252
	s_mov_b32 s8, 0xd000
	s_nop 0
	v_addc_co_u32_e64 v3, s[0:1], 0, v253, s[0:1]
	global_load_dwordx4 v[204:207], v[2:3], off offset:3968
	s_mov_b32 s0, 0x8000
	v_add_co_u32_e64 v2, s[0:1], s0, v252
	s_mov_b32 s28, 0x370991
	s_nop 0
	v_addc_co_u32_e64 v3, s[0:1], 0, v253, s[0:1]
	global_load_dwordx4 v[212:215], v[2:3], off offset:1504
	global_load_dwordx4 v[216:219], v[2:3], off offset:3136
	s_mov_b32 s0, 0x9000
	v_add_co_u32_e64 v2, s[0:1], s0, v252
	s_mov_b32 s20, 0x75d4884
	s_nop 0
	v_addc_co_u32_e64 v3, s[0:1], 0, v253, s[0:1]
	global_load_dwordx4 v[220:223], v[2:3], off offset:672
	global_load_dwordx4 v[224:227], v[2:3], off offset:2304
	;; [unrolled: 1-line block ×3, first 2 shown]
	s_mov_b32 s0, 0xa000
	v_add_co_u32_e64 v2, s[0:1], s0, v252
	s_mov_b32 s14, 0x2b2883cd
	s_nop 0
	v_addc_co_u32_e64 v3, s[0:1], 0, v253, s[0:1]
	global_load_dwordx4 v[228:231], v[2:3], off offset:1472
	ds_read_b128 v[248:251], v0
	ds_read_b128 v[244:247], v0 offset:1632
	global_load_dwordx4 v[240:243], v[2:3], off offset:3104
	s_mov_b32 s0, 0xb000
	v_add_co_u32_e64 v14, s[0:1], s0, v252
	s_mov_b32 s30, 0xc61f0d01
	s_nop 0
	v_addc_co_u32_e64 v15, s[0:1], 0, v253, s[0:1]
	global_load_dwordx4 v[236:239], v[14:15], off offset:640
	ds_read_b128 v[2:5], v0 offset:3264
	ds_read_b128 v[6:9], v0 offset:4896
	global_load_dwordx4 v[10:13], v[14:15], off offset:2272
	global_load_dwordx4 v[18:21], v[14:15], off offset:3904
	s_mov_b32 s0, 0xc000
	v_add_co_u32_e64 v26, s[0:1], s0, v252
	s_mov_b32 s40, 0x6ed5f1bb
	s_nop 0
	v_addc_co_u32_e64 v27, s[0:1], 0, v253, s[0:1]
	v_add_co_u32_e64 v14, s[0:1], s8, v252
	s_mov_b32 s8, 0x3259b75e
	s_nop 0
	v_addc_co_u32_e64 v15, s[0:1], 0, v253, s[0:1]
	global_load_dwordx4 v[22:25], v[26:27], off offset:1440
	s_nop 0
	global_load_dwordx4 v[26:29], v[26:27], off offset:3072
	s_nop 0
	global_load_dwordx4 v[30:33], v[14:15], off offset:608
	s_mov_b32 s46, 0x910ea3b9
	s_mov_b32 s52, 0x7faef3
	;; [unrolled: 1-line block ×24, first 2 shown]
	s_waitcnt vmcnt(16) lgkmcnt(3)
	v_mul_f64 v[14:15], v[250:251], v[198:199]
	v_mul_f64 v[36:37], v[248:249], v[198:199]
	s_waitcnt vmcnt(15) lgkmcnt(2)
	v_mul_f64 v[38:39], v[246:247], v[202:203]
	v_mul_f64 v[40:41], v[244:245], v[202:203]
	;; [unrolled: 3-line block ×3, first 2 shown]
	v_fma_f64 v[34:35], v[248:249], v[196:197], -v[14:15]
	v_fmac_f64_e32 v[36:37], v[250:251], v[196:197]
	v_fma_f64 v[38:39], v[244:245], v[200:201], -v[38:39]
	v_fmac_f64_e32 v[40:41], v[246:247], v[200:201]
	;; [unrolled: 2-line block ×3, first 2 shown]
	ds_write_b128 v0, v[34:37]
	ds_write_b128 v0, v[38:41] offset:1632
	ds_write_b128 v0, v[196:199] offset:3264
	ds_read_b128 v[34:37], v0 offset:6528
	s_waitcnt vmcnt(13) lgkmcnt(4)
	v_mul_f64 v[202:203], v[8:9], v[206:207]
	v_mul_f64 v[4:5], v[6:7], v[206:207]
	v_fma_f64 v[2:3], v[6:7], v[204:205], -v[202:203]
	v_fmac_f64_e32 v[4:5], v[8:9], v[204:205]
	ds_write_b128 v0, v[2:5] offset:4896
	ds_read_b128 v[2:5], v0 offset:8160
	s_waitcnt vmcnt(12) lgkmcnt(2)
	v_mul_f64 v[6:7], v[36:37], v[214:215]
	v_mul_f64 v[8:9], v[34:35], v[214:215]
	v_fma_f64 v[6:7], v[34:35], v[212:213], -v[6:7]
	v_fmac_f64_e32 v[8:9], v[36:37], v[212:213]
	ds_read_b128 v[34:37], v0 offset:9792
	ds_write_b128 v0, v[6:9] offset:6528
	s_waitcnt vmcnt(11) lgkmcnt(2)
	v_mul_f64 v[6:7], v[4:5], v[218:219]
	v_mul_f64 v[8:9], v[2:3], v[218:219]
	v_fma_f64 v[6:7], v[2:3], v[216:217], -v[6:7]
	v_fmac_f64_e32 v[8:9], v[4:5], v[216:217]
	ds_read_b128 v[2:5], v0 offset:11424
	ds_write_b128 v0, v[6:9] offset:8160
	;; [unrolled: 7-line block ×10, first 2 shown]
	s_waitcnt vmcnt(2) lgkmcnt(3)
	v_mul_f64 v[6:7], v[12:13], v[24:25]
	v_mul_f64 v[8:9], v[10:11], v[24:25]
	v_fma_f64 v[6:7], v[10:11], v[22:23], -v[6:7]
	v_fmac_f64_e32 v[8:9], v[12:13], v[22:23]
	ds_write_b128 v0, v[6:9] offset:22848
	ds_read_b128 v[6:9], v0 offset:26112
	s_waitcnt vmcnt(1) lgkmcnt(3)
	v_mul_f64 v[10:11], v[4:5], v[28:29]
	v_mul_f64 v[12:13], v[2:3], v[28:29]
	v_fma_f64 v[10:11], v[2:3], v[26:27], -v[10:11]
	v_fmac_f64_e32 v[12:13], v[4:5], v[26:27]
	s_waitcnt vmcnt(0) lgkmcnt(0)
	v_mul_f64 v[2:3], v[8:9], v[32:33]
	v_mul_f64 v[4:5], v[6:7], v[32:33]
	v_fma_f64 v[2:3], v[6:7], v[30:31], -v[2:3]
	v_fmac_f64_e32 v[4:5], v[8:9], v[30:31]
	ds_write_b128 v0, v[10:13] offset:24480
	ds_write_b128 v0, v[2:5] offset:26112
	s_waitcnt lgkmcnt(0)
	s_barrier
	ds_read_b128 v[244:247], v0
	ds_read_b128 v[2:5], v0 offset:1632
	ds_read_b128 v[248:251], v0 offset:3264
	;; [unrolled: 1-line block ×16, first 2 shown]
	s_waitcnt lgkmcnt(14)
	v_add_f64 v[18:19], v[246:247], v[4:5]
	v_add_f64 v[14:15], v[244:245], v[2:3]
	;; [unrolled: 1-line block ×4, first 2 shown]
	s_waitcnt lgkmcnt(13)
	v_add_f64 v[18:19], v[18:19], v[242:243]
	v_add_f64 v[14:15], v[14:15], v[240:241]
	s_waitcnt lgkmcnt(12)
	v_add_f64 v[18:19], v[18:19], v[234:235]
	v_add_f64 v[14:15], v[14:15], v[232:233]
	;; [unrolled: 3-line block ×14, first 2 shown]
	v_add_f64 v[196:197], v[14:15], v[10:11]
	v_add_f64 v[14:15], v[2:3], v[10:11]
	v_add_f64 v[2:3], v[2:3], -v[10:11]
	v_add_f64 v[4:5], v[4:5], -v[12:13]
	v_mul_f64 v[20:21], v[18:19], s[28:29]
	v_mul_f64 v[28:29], v[18:19], s[20:21]
	v_mul_f64 v[36:37], v[18:19], s[14:15]
	v_mul_f64 v[44:45], v[18:19], s[8:9]
	v_mul_f64 v[52:53], v[18:19], s[30:31]
	v_mul_f64 v[60:61], v[18:19], s[40:41]
	s_mov_b32 s45, 0xbfe0d888
	v_mul_f64 v[68:69], v[18:19], s[46:47]
	s_mov_b32 s51, 0xbfc7851a
	v_mul_f64 v[18:19], v[18:19], s[52:53]
	s_mov_b32 s55, 0x3fc7851a
	s_mov_b32 s54, s50
	v_mul_f64 v[10:11], v[4:5], s[26:27]
	s_mov_b32 s35, 0x3fd71e95
	;; [unrolled: 3-line block ×8, first 2 shown]
	s_mov_b32 s48, s44
	v_mul_f64 v[4:5], v[4:5], s[50:51]
	v_fma_f64 v[74:75], s[54:55], v[2:3], v[18:19]
	v_fmac_f64_e32 v[18:19], s[50:51], v[2:3]
	v_fma_f64 v[12:13], s[28:29], v[14:15], v[10:11]
	v_fma_f64 v[22:23], s[34:35], v[2:3], v[20:21]
	v_fma_f64 v[10:11], v[14:15], s[28:29], -v[10:11]
	v_fmac_f64_e32 v[20:21], s[26:27], v[2:3]
	v_fma_f64 v[26:27], s[20:21], v[14:15], v[24:25]
	v_fma_f64 v[30:31], s[22:23], v[2:3], v[28:29]
	v_fma_f64 v[24:25], v[14:15], s[20:21], -v[24:25]
	;; [unrolled: 4-line block ×7, first 2 shown]
	v_fmac_f64_e32 v[68:69], s[44:45], v[2:3]
	v_fma_f64 v[72:73], s[52:53], v[14:15], v[4:5]
	v_fma_f64 v[4:5], v[14:15], s[52:53], -v[4:5]
	v_add_f64 v[2:3], v[246:247], v[18:19]
	v_add_f64 v[18:19], v[250:251], v[8:9]
	v_add_f64 v[8:9], v[250:251], -v[8:9]
	v_add_f64 v[12:13], v[244:245], v[12:13]
	v_add_f64 v[10:11], v[244:245], v[10:11]
	;; [unrolled: 1-line block ×17, first 2 shown]
	v_mul_f64 v[244:245], v[8:9], s[18:19]
	v_add_f64 v[22:23], v[246:247], v[22:23]
	v_add_f64 v[20:21], v[246:247], v[20:21]
	;; [unrolled: 1-line block ×15, first 2 shown]
	v_fma_f64 v[246:247], s[20:21], v[14:15], v[244:245]
	v_add_f64 v[6:7], v[248:249], -v[6:7]
	v_add_f64 v[12:13], v[246:247], v[12:13]
	v_mul_f64 v[246:247], v[18:19], s[20:21]
	v_fma_f64 v[244:245], v[14:15], s[20:21], -v[244:245]
	v_fma_f64 v[248:249], s[22:23], v[6:7], v[246:247]
	v_add_f64 v[10:11], v[244:245], v[10:11]
	v_fmac_f64_e32 v[246:247], s[18:19], v[6:7]
	v_mul_f64 v[244:245], v[8:9], s[0:1]
	v_add_f64 v[20:21], v[246:247], v[20:21]
	v_fma_f64 v[246:247], s[8:9], v[14:15], v[244:245]
	v_add_f64 v[26:27], v[246:247], v[26:27]
	v_mul_f64 v[246:247], v[18:19], s[8:9]
	v_fma_f64 v[244:245], v[14:15], s[8:9], -v[244:245]
	v_add_f64 v[22:23], v[248:249], v[22:23]
	v_fma_f64 v[248:249], s[10:11], v[6:7], v[246:247]
	v_add_f64 v[24:25], v[244:245], v[24:25]
	v_fmac_f64_e32 v[246:247], s[0:1], v[6:7]
	v_mul_f64 v[244:245], v[8:9], s[38:39]
	v_add_f64 v[28:29], v[246:247], v[28:29]
	v_fma_f64 v[246:247], s[40:41], v[14:15], v[244:245]
	v_add_f64 v[34:35], v[246:247], v[34:35]
	v_mul_f64 v[246:247], v[18:19], s[40:41]
	v_fma_f64 v[244:245], v[14:15], s[40:41], -v[244:245]
	v_add_f64 v[30:31], v[248:249], v[30:31]
	;; [unrolled: 10-line block ×5, first 2 shown]
	v_fma_f64 v[248:249], s[24:25], v[6:7], v[246:247]
	v_add_f64 v[56:57], v[244:245], v[56:57]
	v_fmac_f64_e32 v[246:247], s[36:37], v[6:7]
	v_mul_f64 v[244:245], v[8:9], s[16:17]
	v_add_f64 v[60:61], v[246:247], v[60:61]
	v_fma_f64 v[246:247], s[14:15], v[14:15], v[244:245]
	v_fma_f64 v[244:245], v[14:15], s[14:15], -v[244:245]
	v_mul_f64 v[8:9], v[8:9], s[34:35]
	v_add_f64 v[66:67], v[246:247], v[66:67]
	v_mul_f64 v[246:247], v[18:19], s[14:15]
	v_add_f64 v[64:65], v[244:245], v[64:65]
	v_fma_f64 v[244:245], s[28:29], v[14:15], v[8:9]
	v_mul_f64 v[18:19], v[18:19], s[28:29]
	v_add_f64 v[72:73], v[244:245], v[72:73]
	v_fma_f64 v[244:245], s[26:27], v[6:7], v[18:19]
	v_fmac_f64_e32 v[18:19], s[34:35], v[6:7]
	v_add_f64 v[2:3], v[18:19], v[2:3]
	v_add_f64 v[18:19], v[242:243], -v[254:255]
	v_add_f64 v[62:63], v[248:249], v[62:63]
	v_fma_f64 v[248:249], s[12:13], v[6:7], v[246:247]
	v_fmac_f64_e32 v[246:247], s[16:17], v[6:7]
	v_fma_f64 v[8:9], v[14:15], s[28:29], -v[8:9]
	v_add_f64 v[6:7], v[240:241], v[252:253]
	v_add_f64 v[14:15], v[240:241], -v[252:253]
	v_mul_f64 v[240:241], v[18:19], s[12:13]
	v_add_f64 v[4:5], v[8:9], v[4:5]
	v_add_f64 v[8:9], v[242:243], v[254:255]
	v_fma_f64 v[242:243], s[14:15], v[6:7], v[240:241]
	v_add_f64 v[12:13], v[242:243], v[12:13]
	v_mul_f64 v[242:243], v[8:9], s[14:15]
	v_fma_f64 v[240:241], v[6:7], s[14:15], -v[240:241]
	v_add_f64 v[74:75], v[244:245], v[74:75]
	v_fma_f64 v[244:245], s[16:17], v[14:15], v[242:243]
	v_add_f64 v[10:11], v[240:241], v[10:11]
	v_fmac_f64_e32 v[242:243], s[12:13], v[14:15]
	v_mul_f64 v[240:241], v[18:19], s[38:39]
	v_add_f64 v[20:21], v[242:243], v[20:21]
	v_fma_f64 v[242:243], s[40:41], v[6:7], v[240:241]
	v_add_f64 v[26:27], v[242:243], v[26:27]
	v_mul_f64 v[242:243], v[8:9], s[40:41]
	v_fma_f64 v[240:241], v[6:7], s[40:41], -v[240:241]
	v_add_f64 v[22:23], v[244:245], v[22:23]
	v_fma_f64 v[244:245], s[42:43], v[14:15], v[242:243]
	v_add_f64 v[24:25], v[240:241], v[24:25]
	v_fmac_f64_e32 v[242:243], s[38:39], v[14:15]
	v_mul_f64 v[240:241], v[18:19], s[54:55]
	v_add_f64 v[28:29], v[242:243], v[28:29]
	v_fma_f64 v[242:243], s[52:53], v[6:7], v[240:241]
	v_add_f64 v[34:35], v[242:243], v[34:35]
	v_mul_f64 v[242:243], v[8:9], s[52:53]
	v_fma_f64 v[240:241], v[6:7], s[52:53], -v[240:241]
	v_add_f64 v[30:31], v[244:245], v[30:31]
	v_fma_f64 v[244:245], s[50:51], v[14:15], v[242:243]
	v_add_f64 v[32:33], v[240:241], v[32:33]
	v_fmac_f64_e32 v[242:243], s[54:55], v[14:15]
	v_mul_f64 v[240:241], v[18:19], s[36:37]
	v_add_f64 v[36:37], v[242:243], v[36:37]
	v_fma_f64 v[242:243], s[30:31], v[6:7], v[240:241]
	v_add_f64 v[42:43], v[242:243], v[42:43]
	v_mul_f64 v[242:243], v[8:9], s[30:31]
	v_fma_f64 v[240:241], v[6:7], s[30:31], -v[240:241]
	v_add_f64 v[38:39], v[244:245], v[38:39]
	v_fma_f64 v[244:245], s[24:25], v[14:15], v[242:243]
	v_add_f64 v[40:41], v[240:241], v[40:41]
	v_fmac_f64_e32 v[242:243], s[36:37], v[14:15]
	v_mul_f64 v[240:241], v[18:19], s[22:23]
	v_add_f64 v[44:45], v[242:243], v[44:45]
	v_fma_f64 v[242:243], s[20:21], v[6:7], v[240:241]
	v_add_f64 v[50:51], v[242:243], v[50:51]
	v_mul_f64 v[242:243], v[8:9], s[20:21]
	v_fma_f64 v[240:241], v[6:7], s[20:21], -v[240:241]
	v_add_f64 v[46:47], v[244:245], v[46:47]
	v_fma_f64 v[244:245], s[18:19], v[14:15], v[242:243]
	v_add_f64 v[48:49], v[240:241], v[48:49]
	v_fmac_f64_e32 v[242:243], s[22:23], v[14:15]
	v_mul_f64 v[240:241], v[18:19], s[26:27]
	v_add_f64 v[52:53], v[242:243], v[52:53]
	v_fma_f64 v[242:243], s[28:29], v[6:7], v[240:241]
	v_add_f64 v[58:59], v[242:243], v[58:59]
	v_mul_f64 v[242:243], v[8:9], s[28:29]
	v_fma_f64 v[240:241], v[6:7], s[28:29], -v[240:241]
	v_add_f64 v[54:55], v[244:245], v[54:55]
	v_fma_f64 v[244:245], s[34:35], v[14:15], v[242:243]
	v_add_f64 v[56:57], v[240:241], v[56:57]
	v_fmac_f64_e32 v[242:243], s[26:27], v[14:15]
	v_mul_f64 v[240:241], v[18:19], s[0:1]
	v_add_f64 v[60:61], v[242:243], v[60:61]
	v_fma_f64 v[242:243], s[8:9], v[6:7], v[240:241]
	v_fma_f64 v[240:241], v[6:7], s[8:9], -v[240:241]
	v_mul_f64 v[18:19], v[18:19], s[44:45]
	v_add_f64 v[66:67], v[242:243], v[66:67]
	v_mul_f64 v[242:243], v[8:9], s[8:9]
	v_add_f64 v[64:65], v[240:241], v[64:65]
	v_fma_f64 v[240:241], s[46:47], v[6:7], v[18:19]
	v_mul_f64 v[8:9], v[8:9], s[46:47]
	v_fma_f64 v[6:7], v[6:7], s[46:47], -v[18:19]
	v_add_f64 v[18:19], v[234:235], -v[238:239]
	v_add_f64 v[62:63], v[244:245], v[62:63]
	v_fma_f64 v[244:245], s[10:11], v[14:15], v[242:243]
	v_fmac_f64_e32 v[242:243], s[0:1], v[14:15]
	v_add_f64 v[72:73], v[240:241], v[72:73]
	v_fma_f64 v[240:241], s[48:49], v[14:15], v[8:9]
	v_add_f64 v[4:5], v[6:7], v[4:5]
	v_fmac_f64_e32 v[8:9], s[44:45], v[14:15]
	v_add_f64 v[6:7], v[232:233], v[236:237]
	v_add_f64 v[14:15], v[232:233], -v[236:237]
	v_mul_f64 v[232:233], v[18:19], s[0:1]
	v_add_f64 v[2:3], v[8:9], v[2:3]
	v_add_f64 v[8:9], v[234:235], v[238:239]
	v_fma_f64 v[234:235], s[8:9], v[6:7], v[232:233]
	v_add_f64 v[12:13], v[234:235], v[12:13]
	v_mul_f64 v[234:235], v[8:9], s[8:9]
	v_fma_f64 v[232:233], v[6:7], s[8:9], -v[232:233]
	v_fma_f64 v[236:237], s[10:11], v[14:15], v[234:235]
	v_add_f64 v[10:11], v[232:233], v[10:11]
	v_fmac_f64_e32 v[234:235], s[0:1], v[14:15]
	v_mul_f64 v[232:233], v[18:19], s[50:51]
	v_add_f64 v[20:21], v[234:235], v[20:21]
	v_fma_f64 v[234:235], s[52:53], v[6:7], v[232:233]
	v_add_f64 v[26:27], v[234:235], v[26:27]
	v_mul_f64 v[234:235], v[8:9], s[52:53]
	v_fma_f64 v[232:233], v[6:7], s[52:53], -v[232:233]
	v_add_f64 v[22:23], v[236:237], v[22:23]
	v_fma_f64 v[236:237], s[54:55], v[14:15], v[234:235]
	v_add_f64 v[24:25], v[232:233], v[24:25]
	v_fmac_f64_e32 v[234:235], s[50:51], v[14:15]
	v_mul_f64 v[232:233], v[18:19], s[36:37]
	v_add_f64 v[28:29], v[234:235], v[28:29]
	v_fma_f64 v[234:235], s[30:31], v[6:7], v[232:233]
	v_add_f64 v[34:35], v[234:235], v[34:35]
	v_mul_f64 v[234:235], v[8:9], s[30:31]
	v_fma_f64 v[232:233], v[6:7], s[30:31], -v[232:233]
	v_add_f64 v[30:31], v[236:237], v[30:31]
	;; [unrolled: 10-line block ×5, first 2 shown]
	v_fma_f64 v[236:237], s[48:49], v[14:15], v[234:235]
	v_add_f64 v[56:57], v[232:233], v[56:57]
	v_fmac_f64_e32 v[234:235], s[44:45], v[14:15]
	v_mul_f64 v[232:233], v[18:19], s[42:43]
	v_add_f64 v[60:61], v[234:235], v[60:61]
	v_fma_f64 v[234:235], s[40:41], v[6:7], v[232:233]
	v_fma_f64 v[232:233], v[6:7], s[40:41], -v[232:233]
	v_mul_f64 v[18:19], v[18:19], s[22:23]
	v_add_f64 v[66:67], v[234:235], v[66:67]
	v_mul_f64 v[234:235], v[8:9], s[40:41]
	v_add_f64 v[64:65], v[232:233], v[64:65]
	v_fma_f64 v[232:233], s[20:21], v[6:7], v[18:19]
	v_mul_f64 v[8:9], v[8:9], s[20:21]
	v_fma_f64 v[6:7], v[6:7], s[20:21], -v[18:19]
	v_add_f64 v[18:19], v[226:227], -v[230:231]
	v_add_f64 v[62:63], v[236:237], v[62:63]
	v_fma_f64 v[236:237], s[38:39], v[14:15], v[234:235]
	v_fmac_f64_e32 v[234:235], s[42:43], v[14:15]
	v_add_f64 v[72:73], v[232:233], v[72:73]
	v_fma_f64 v[232:233], s[18:19], v[14:15], v[8:9]
	v_add_f64 v[4:5], v[6:7], v[4:5]
	v_fmac_f64_e32 v[8:9], s[22:23], v[14:15]
	v_add_f64 v[6:7], v[224:225], v[228:229]
	v_add_f64 v[14:15], v[224:225], -v[228:229]
	v_mul_f64 v[224:225], v[18:19], s[24:25]
	v_add_f64 v[2:3], v[8:9], v[2:3]
	v_add_f64 v[8:9], v[226:227], v[230:231]
	v_fma_f64 v[226:227], s[30:31], v[6:7], v[224:225]
	v_add_f64 v[12:13], v[226:227], v[12:13]
	v_mul_f64 v[226:227], v[8:9], s[30:31]
	v_fma_f64 v[224:225], v[6:7], s[30:31], -v[224:225]
	v_fma_f64 v[228:229], s[36:37], v[14:15], v[226:227]
	v_add_f64 v[10:11], v[224:225], v[10:11]
	v_fmac_f64_e32 v[226:227], s[24:25], v[14:15]
	v_mul_f64 v[224:225], v[18:19], s[48:49]
	v_add_f64 v[20:21], v[226:227], v[20:21]
	v_fma_f64 v[226:227], s[46:47], v[6:7], v[224:225]
	v_add_f64 v[26:27], v[226:227], v[26:27]
	v_mul_f64 v[226:227], v[8:9], s[46:47]
	v_fma_f64 v[224:225], v[6:7], s[46:47], -v[224:225]
	v_add_f64 v[22:23], v[228:229], v[22:23]
	v_fma_f64 v[228:229], s[44:45], v[14:15], v[226:227]
	v_add_f64 v[24:25], v[224:225], v[24:25]
	v_fmac_f64_e32 v[226:227], s[48:49], v[14:15]
	v_mul_f64 v[224:225], v[18:19], s[22:23]
	v_add_f64 v[28:29], v[226:227], v[28:29]
	v_fma_f64 v[226:227], s[20:21], v[6:7], v[224:225]
	v_add_f64 v[34:35], v[226:227], v[34:35]
	v_mul_f64 v[226:227], v[8:9], s[20:21]
	v_fma_f64 v[224:225], v[6:7], s[20:21], -v[224:225]
	v_add_f64 v[30:31], v[228:229], v[30:31]
	;; [unrolled: 10-line block ×5, first 2 shown]
	v_fma_f64 v[228:229], s[0:1], v[14:15], v[226:227]
	v_add_f64 v[56:57], v[224:225], v[56:57]
	v_fmac_f64_e32 v[226:227], s[10:11], v[14:15]
	v_mul_f64 v[224:225], v[18:19], s[26:27]
	v_add_f64 v[60:61], v[226:227], v[60:61]
	v_fma_f64 v[226:227], s[28:29], v[6:7], v[224:225]
	v_fma_f64 v[224:225], v[6:7], s[28:29], -v[224:225]
	v_mul_f64 v[18:19], v[18:19], s[38:39]
	v_add_f64 v[66:67], v[226:227], v[66:67]
	v_mul_f64 v[226:227], v[8:9], s[28:29]
	v_add_f64 v[64:65], v[224:225], v[64:65]
	v_fma_f64 v[224:225], s[40:41], v[6:7], v[18:19]
	v_mul_f64 v[8:9], v[8:9], s[40:41]
	v_fma_f64 v[6:7], v[6:7], s[40:41], -v[18:19]
	v_add_f64 v[18:19], v[218:219], -v[222:223]
	v_add_f64 v[62:63], v[228:229], v[62:63]
	v_fma_f64 v[228:229], s[34:35], v[14:15], v[226:227]
	v_fmac_f64_e32 v[226:227], s[26:27], v[14:15]
	v_add_f64 v[72:73], v[224:225], v[72:73]
	v_fma_f64 v[224:225], s[42:43], v[14:15], v[8:9]
	v_add_f64 v[4:5], v[6:7], v[4:5]
	v_fmac_f64_e32 v[8:9], s[38:39], v[14:15]
	v_add_f64 v[6:7], v[216:217], v[220:221]
	v_add_f64 v[14:15], v[216:217], -v[220:221]
	v_mul_f64 v[216:217], v[18:19], s[38:39]
	v_add_f64 v[2:3], v[8:9], v[2:3]
	v_add_f64 v[8:9], v[218:219], v[222:223]
	v_fma_f64 v[218:219], s[40:41], v[6:7], v[216:217]
	v_add_f64 v[12:13], v[218:219], v[12:13]
	v_mul_f64 v[218:219], v[8:9], s[40:41]
	v_fma_f64 v[216:217], v[6:7], s[40:41], -v[216:217]
	v_fma_f64 v[220:221], s[42:43], v[14:15], v[218:219]
	v_add_f64 v[10:11], v[216:217], v[10:11]
	v_fmac_f64_e32 v[218:219], s[38:39], v[14:15]
	v_mul_f64 v[216:217], v[18:19], s[36:37]
	v_add_f64 v[20:21], v[218:219], v[20:21]
	v_fma_f64 v[218:219], s[30:31], v[6:7], v[216:217]
	v_add_f64 v[26:27], v[218:219], v[26:27]
	v_mul_f64 v[218:219], v[8:9], s[30:31]
	v_fma_f64 v[216:217], v[6:7], s[30:31], -v[216:217]
	v_add_f64 v[22:23], v[220:221], v[22:23]
	v_fma_f64 v[220:221], s[24:25], v[14:15], v[218:219]
	v_add_f64 v[24:25], v[216:217], v[24:25]
	v_fmac_f64_e32 v[218:219], s[36:37], v[14:15]
	v_mul_f64 v[216:217], v[18:19], s[26:27]
	v_add_f64 v[28:29], v[218:219], v[28:29]
	v_fma_f64 v[218:219], s[28:29], v[6:7], v[216:217]
	v_add_f64 v[34:35], v[218:219], v[34:35]
	v_mul_f64 v[218:219], v[8:9], s[28:29]
	v_fma_f64 v[216:217], v[6:7], s[28:29], -v[216:217]
	v_add_f64 v[30:31], v[220:221], v[30:31]
	;; [unrolled: 10-line block ×5, first 2 shown]
	v_fma_f64 v[220:221], s[22:23], v[14:15], v[218:219]
	v_add_f64 v[56:57], v[216:217], v[56:57]
	v_fmac_f64_e32 v[218:219], s[18:19], v[14:15]
	v_mul_f64 v[216:217], v[18:19], s[50:51]
	v_add_f64 v[60:61], v[218:219], v[60:61]
	v_fma_f64 v[218:219], s[52:53], v[6:7], v[216:217]
	v_fma_f64 v[216:217], v[6:7], s[52:53], -v[216:217]
	v_mul_f64 v[18:19], v[18:19], s[16:17]
	v_add_f64 v[66:67], v[218:219], v[66:67]
	v_mul_f64 v[218:219], v[8:9], s[52:53]
	v_add_f64 v[64:65], v[216:217], v[64:65]
	v_fma_f64 v[216:217], s[14:15], v[6:7], v[18:19]
	v_mul_f64 v[8:9], v[8:9], s[14:15]
	v_fma_f64 v[6:7], v[6:7], s[14:15], -v[18:19]
	v_add_f64 v[18:19], v[210:211], -v[214:215]
	v_add_f64 v[62:63], v[220:221], v[62:63]
	v_fma_f64 v[220:221], s[54:55], v[14:15], v[218:219]
	v_fmac_f64_e32 v[218:219], s[50:51], v[14:15]
	v_add_f64 v[72:73], v[216:217], v[72:73]
	v_fma_f64 v[216:217], s[12:13], v[14:15], v[8:9]
	v_add_f64 v[4:5], v[6:7], v[4:5]
	v_fmac_f64_e32 v[8:9], s[16:17], v[14:15]
	v_add_f64 v[6:7], v[208:209], v[212:213]
	v_add_f64 v[14:15], v[208:209], -v[212:213]
	v_mul_f64 v[208:209], v[18:19], s[44:45]
	v_add_f64 v[2:3], v[8:9], v[2:3]
	v_add_f64 v[8:9], v[210:211], v[214:215]
	v_fma_f64 v[210:211], s[46:47], v[6:7], v[208:209]
	v_add_f64 v[12:13], v[210:211], v[12:13]
	v_mul_f64 v[210:211], v[8:9], s[46:47]
	v_fma_f64 v[208:209], v[6:7], s[46:47], -v[208:209]
	v_fma_f64 v[212:213], s[48:49], v[14:15], v[210:211]
	v_add_f64 v[10:11], v[208:209], v[10:11]
	v_fmac_f64_e32 v[210:211], s[44:45], v[14:15]
	v_mul_f64 v[208:209], v[18:19], s[16:17]
	v_add_f64 v[20:21], v[210:211], v[20:21]
	v_fma_f64 v[210:211], s[14:15], v[6:7], v[208:209]
	v_add_f64 v[26:27], v[210:211], v[26:27]
	v_mul_f64 v[210:211], v[8:9], s[14:15]
	v_fma_f64 v[208:209], v[6:7], s[14:15], -v[208:209]
	v_add_f64 v[22:23], v[212:213], v[22:23]
	v_fma_f64 v[212:213], s[12:13], v[14:15], v[210:211]
	v_add_f64 v[24:25], v[208:209], v[24:25]
	v_fmac_f64_e32 v[210:211], s[16:17], v[14:15]
	v_mul_f64 v[208:209], v[18:19], s[0:1]
	v_add_f64 v[28:29], v[210:211], v[28:29]
	v_fma_f64 v[210:211], s[8:9], v[6:7], v[208:209]
	v_add_f64 v[34:35], v[210:211], v[34:35]
	v_mul_f64 v[210:211], v[8:9], s[8:9]
	v_fma_f64 v[208:209], v[6:7], s[8:9], -v[208:209]
	v_add_f64 v[30:31], v[212:213], v[30:31]
	;; [unrolled: 10-line block ×4, first 2 shown]
	v_fma_f64 v[212:213], s[34:35], v[14:15], v[210:211]
	v_add_f64 v[48:49], v[208:209], v[48:49]
	v_fmac_f64_e32 v[210:211], s[26:27], v[14:15]
	v_mul_f64 v[208:209], v[18:19], s[50:51]
	v_add_f64 v[52:53], v[210:211], v[52:53]
	v_fma_f64 v[210:211], s[52:53], v[6:7], v[208:209]
	v_add_f64 v[70:71], v[248:249], v[70:71]
	v_add_f64 v[58:59], v[210:211], v[58:59]
	v_mul_f64 v[210:211], v[8:9], s[52:53]
	v_fma_f64 v[208:209], v[6:7], s[52:53], -v[208:209]
	v_add_f64 v[70:71], v[244:245], v[70:71]
	v_add_f64 v[54:55], v[212:213], v[54:55]
	v_fma_f64 v[212:213], s[54:55], v[14:15], v[210:211]
	v_add_f64 v[56:57], v[208:209], v[56:57]
	v_fmac_f64_e32 v[210:211], s[50:51], v[14:15]
	v_mul_f64 v[208:209], v[18:19], s[22:23]
	v_add_f64 v[68:69], v[246:247], v[68:69]
	v_add_f64 v[70:71], v[236:237], v[70:71]
	v_add_f64 v[60:61], v[210:211], v[60:61]
	v_fma_f64 v[210:211], s[20:21], v[6:7], v[208:209]
	v_fma_f64 v[208:209], v[6:7], s[20:21], -v[208:209]
	v_mul_f64 v[18:19], v[18:19], s[24:25]
	v_add_f64 v[68:69], v[242:243], v[68:69]
	v_add_f64 v[74:75], v[240:241], v[74:75]
	v_add_f64 v[70:71], v[228:229], v[70:71]
	v_add_f64 v[66:67], v[210:211], v[66:67]
	v_mul_f64 v[210:211], v[8:9], s[20:21]
	v_add_f64 v[64:65], v[208:209], v[64:65]
	v_fma_f64 v[208:209], s[30:31], v[6:7], v[18:19]
	v_mul_f64 v[8:9], v[8:9], s[30:31]
	v_add_f64 v[68:69], v[234:235], v[68:69]
	v_add_f64 v[74:75], v[232:233], v[74:75]
	;; [unrolled: 1-line block ×4, first 2 shown]
	v_fma_f64 v[208:209], s[36:37], v[14:15], v[8:9]
	v_fma_f64 v[6:7], v[6:7], s[30:31], -v[18:19]
	v_fmac_f64_e32 v[8:9], s[24:25], v[14:15]
	v_add_f64 v[222:223], v[202:203], v[206:207]
	v_add_f64 v[220:221], v[202:203], -v[206:207]
	v_add_f64 v[68:69], v[226:227], v[68:69]
	v_add_f64 v[74:75], v[224:225], v[74:75]
	;; [unrolled: 1-line block ×3, first 2 shown]
	v_fma_f64 v[212:213], s[18:19], v[14:15], v[210:211]
	v_fmac_f64_e32 v[210:211], s[22:23], v[14:15]
	v_add_f64 v[224:225], v[6:7], v[4:5]
	v_add_f64 v[14:15], v[8:9], v[2:3]
	;; [unrolled: 1-line block ×3, first 2 shown]
	v_add_f64 v[228:229], v[200:201], -v[204:205]
	v_mul_f64 v[6:7], v[220:221], s[50:51]
	v_mul_f64 v[8:9], v[222:223], s[52:53]
	v_fma_f64 v[2:3], s[52:53], v[226:227], v[6:7]
	v_fma_f64 v[4:5], s[54:55], v[228:229], v[8:9]
	v_fma_f64 v[6:7], v[226:227], s[52:53], -v[6:7]
	v_fmac_f64_e32 v[8:9], s[50:51], v[228:229]
	v_mul_f64 v[18:19], v[220:221], s[34:35]
	v_add_f64 v[6:7], v[6:7], v[10:11]
	v_add_f64 v[8:9], v[8:9], v[20:21]
	v_fma_f64 v[10:11], s[28:29], v[226:227], v[18:19]
	v_mul_f64 v[20:21], v[222:223], s[28:29]
	v_add_f64 v[2:3], v[2:3], v[12:13]
	v_add_f64 v[10:11], v[10:11], v[26:27]
	v_fma_f64 v[12:13], s[26:27], v[228:229], v[20:21]
	v_fmac_f64_e32 v[20:21], s[34:35], v[228:229]
	v_mul_f64 v[26:27], v[220:221], s[44:45]
	v_add_f64 v[4:5], v[4:5], v[22:23]
	v_fma_f64 v[18:19], v[226:227], s[28:29], -v[18:19]
	v_add_f64 v[20:21], v[20:21], v[28:29]
	v_fma_f64 v[22:23], s[46:47], v[226:227], v[26:27]
	v_mul_f64 v[28:29], v[222:223], s[46:47]
	v_add_f64 v[18:19], v[18:19], v[24:25]
	v_add_f64 v[22:23], v[22:23], v[34:35]
	v_fma_f64 v[24:25], s[48:49], v[228:229], v[28:29]
	v_fmac_f64_e32 v[28:29], s[44:45], v[228:229]
	v_mul_f64 v[34:35], v[220:221], s[22:23]
	v_add_f64 v[12:13], v[12:13], v[30:31]
	v_fma_f64 v[26:27], v[226:227], s[46:47], -v[26:27]
	;; [unrolled: 10-line block ×3, first 2 shown]
	v_add_f64 v[36:37], v[36:37], v[44:45]
	v_fma_f64 v[38:39], s[40:41], v[226:227], v[42:43]
	v_mul_f64 v[44:45], v[222:223], s[40:41]
	v_fma_f64 v[42:43], v[226:227], s[40:41], -v[42:43]
	v_add_f64 v[34:35], v[34:35], v[40:41]
	v_fma_f64 v[40:41], s[42:43], v[228:229], v[44:45]
	v_add_f64 v[200:201], v[42:43], v[48:49]
	v_fmac_f64_e32 v[44:45], s[38:39], v[228:229]
	v_mul_f64 v[42:43], v[220:221], s[16:17]
	v_add_f64 v[202:203], v[44:45], v[52:53]
	v_fma_f64 v[44:45], s[14:15], v[226:227], v[42:43]
	v_add_f64 v[74:75], v[216:217], v[74:75]
	v_add_f64 v[204:205], v[44:45], v[58:59]
	v_mul_f64 v[44:45], v[222:223], s[14:15]
	v_fma_f64 v[42:43], v[226:227], s[14:15], -v[42:43]
	v_add_f64 v[68:69], v[218:219], v[68:69]
	v_add_f64 v[74:75], v[208:209], v[74:75]
	;; [unrolled: 1-line block ×3, first 2 shown]
	v_fma_f64 v[46:47], s[12:13], v[228:229], v[44:45]
	v_add_f64 v[208:209], v[42:43], v[56:57]
	v_fmac_f64_e32 v[44:45], s[16:17], v[228:229]
	v_mul_f64 v[42:43], v[220:221], s[24:25]
	v_add_f64 v[68:69], v[210:211], v[68:69]
	v_add_f64 v[210:211], v[44:45], v[60:61]
	v_fma_f64 v[44:45], s[30:31], v[226:227], v[42:43]
	v_add_f64 v[70:71], v[212:213], v[70:71]
	v_add_f64 v[212:213], v[44:45], v[66:67]
	v_mul_f64 v[44:45], v[222:223], s[30:31]
	v_fma_f64 v[42:43], v[226:227], s[30:31], -v[42:43]
	v_add_f64 v[206:207], v[46:47], v[62:63]
	v_fma_f64 v[46:47], s[36:37], v[228:229], v[44:45]
	v_add_f64 v[216:217], v[42:43], v[64:65]
	v_fmac_f64_e32 v[44:45], s[24:25], v[228:229]
	v_mul_f64 v[42:43], v[220:221], s[10:11]
	v_add_f64 v[218:219], v[44:45], v[68:69]
	v_fma_f64 v[44:45], s[8:9], v[226:227], v[42:43]
	v_add_f64 v[220:221], v[44:45], v[72:73]
	v_mul_f64 v[44:45], v[222:223], s[8:9]
	v_add_f64 v[214:215], v[46:47], v[70:71]
	v_fma_f64 v[46:47], s[0:1], v[228:229], v[44:45]
	v_fma_f64 v[42:43], v[226:227], s[8:9], -v[42:43]
	v_fmac_f64_e32 v[44:45], s[10:11], v[228:229]
	v_add_f64 v[38:39], v[38:39], v[50:51]
	v_add_f64 v[40:41], v[40:41], v[54:55]
	v_add_f64 v[222:223], v[46:47], v[74:75]
	v_add_f64 v[224:225], v[42:43], v[224:225]
	v_add_f64 v[226:227], v[44:45], v[14:15]
	s_barrier
	ds_write_b128 v16, v[196:199]
	ds_write_b128 v16, v[2:5] offset:16
	ds_write_b128 v16, v[10:13] offset:32
	;; [unrolled: 1-line block ×16, first 2 shown]
	s_waitcnt lgkmcnt(0)
	s_barrier
	ds_read_b128 v[196:199], v0
	ds_read_b128 v[2:5], v0 offset:1632
	ds_read_b128 v[6:9], v0 offset:3264
	;; [unrolled: 1-line block ×16, first 2 shown]
	s_waitcnt lgkmcnt(14)
	v_mul_f64 v[42:43], v[82:83], v[4:5]
	v_fmac_f64_e32 v[42:43], v[80:81], v[2:3]
	v_mul_f64 v[2:3], v[82:83], v[2:3]
	v_mul_f64 v[46:47], v[78:79], v[8:9]
	v_fma_f64 v[44:45], v[80:81], v[4:5], -v[2:3]
	v_fmac_f64_e32 v[46:47], v[76:77], v[6:7]
	v_mul_f64 v[2:3], v[78:79], v[6:7]
	v_accvgpr_read_b32 v4, a76
	v_accvgpr_read_b32 v6, a78
	;; [unrolled: 1-line block ×3, first 2 shown]
	v_fma_f64 v[48:49], v[76:77], v[8:9], -v[2:3]
	v_accvgpr_read_b32 v5, a77
	s_waitcnt lgkmcnt(13)
	v_mul_f64 v[202:203], v[6:7], v[12:13]
	v_mul_f64 v[2:3], v[6:7], v[10:11]
	v_fmac_f64_e32 v[202:203], v[4:5], v[10:11]
	v_fma_f64 v[204:205], v[4:5], v[12:13], -v[2:3]
	v_accvgpr_read_b32 v4, a72
	v_accvgpr_read_b32 v6, a74
	;; [unrolled: 1-line block ×4, first 2 shown]
	s_waitcnt lgkmcnt(12)
	v_mul_f64 v[2:3], v[6:7], v[18:19]
	v_mul_f64 v[14:15], v[6:7], v[20:21]
	v_fma_f64 v[200:201], v[4:5], v[20:21], -v[2:3]
	s_waitcnt lgkmcnt(11)
	v_mul_f64 v[6:7], v[98:99], v[24:25]
	v_mul_f64 v[2:3], v[98:99], v[22:23]
	v_fmac_f64_e32 v[6:7], v[96:97], v[22:23]
	v_fma_f64 v[8:9], v[96:97], v[24:25], -v[2:3]
	s_waitcnt lgkmcnt(10)
	v_mul_f64 v[96:97], v[94:95], v[28:29]
	v_mul_f64 v[2:3], v[94:95], v[26:27]
	v_fmac_f64_e32 v[96:97], v[92:93], v[26:27]
	v_fma_f64 v[92:93], v[92:93], v[28:29], -v[2:3]
	s_waitcnt lgkmcnt(9)
	v_mul_f64 v[2:3], v[90:91], v[30:31]
	v_mul_f64 v[80:81], v[90:91], v[32:33]
	v_fma_f64 v[82:83], v[88:89], v[32:33], -v[2:3]
	v_add_f64 v[32:33], v[198:199], v[44:45]
	v_fmac_f64_e32 v[80:81], v[88:89], v[30:31]
	v_add_f64 v[30:31], v[196:197], v[42:43]
	v_add_f64 v[32:33], v[32:33], v[48:49]
	;; [unrolled: 1-line block ×4, first 2 shown]
	v_fmac_f64_e32 v[14:15], v[4:5], v[18:19]
	v_add_f64 v[30:31], v[30:31], v[202:203]
	v_add_f64 v[32:33], v[32:33], v[200:201]
	;; [unrolled: 1-line block ×4, first 2 shown]
	s_waitcnt lgkmcnt(8)
	v_mul_f64 v[2:3], v[86:87], v[34:35]
	v_add_f64 v[30:31], v[30:31], v[6:7]
	v_add_f64 v[32:33], v[32:33], v[92:93]
	v_mul_f64 v[72:73], v[86:87], v[36:37]
	v_fma_f64 v[74:75], v[84:85], v[36:37], -v[2:3]
	s_waitcnt lgkmcnt(7)
	v_mul_f64 v[2:3], v[114:115], v[38:39]
	v_add_f64 v[30:31], v[30:31], v[96:97]
	v_add_f64 v[32:33], v[32:33], v[82:83]
	v_fmac_f64_e32 v[72:73], v[84:85], v[34:35]
	v_mul_f64 v[76:77], v[114:115], v[40:41]
	v_fma_f64 v[78:79], v[112:113], v[40:41], -v[2:3]
	s_waitcnt lgkmcnt(6)
	v_mul_f64 v[2:3], v[110:111], v[206:207]
	v_add_f64 v[30:31], v[30:31], v[80:81]
	v_add_f64 v[32:33], v[32:33], v[74:75]
	v_fmac_f64_e32 v[76:77], v[112:113], v[38:39]
	;; [unrolled: 7-line block ×8, first 2 shown]
	v_mul_f64 v[26:27], v[118:119], v[232:233]
	v_fma_f64 v[28:29], v[116:117], v[232:233], -v[28:29]
	v_add_f64 v[30:31], v[30:31], v[18:19]
	v_add_f64 v[32:33], v[32:33], v[24:25]
	v_fmac_f64_e32 v[26:27], v[116:117], v[230:231]
	v_add_f64 v[30:31], v[30:31], v[22:23]
	v_add_f64 v[70:71], v[32:33], v[28:29]
	;; [unrolled: 1-line block ×5, first 2 shown]
	v_add_f64 v[26:27], v[42:43], -v[26:27]
	v_mul_f64 v[38:39], v[32:33], s[28:29]
	v_mul_f64 v[50:51], v[32:33], s[20:21]
	;; [unrolled: 1-line block ×8, first 2 shown]
	v_add_f64 v[28:29], v[44:45], -v[28:29]
	v_fma_f64 v[124:125], s[54:55], v[26:27], v[32:33]
	v_fmac_f64_e32 v[32:33], s[50:51], v[26:27]
	v_mul_f64 v[34:35], v[28:29], s[26:27]
	v_fma_f64 v[40:41], s[34:35], v[26:27], v[38:39]
	v_fmac_f64_e32 v[38:39], s[26:27], v[26:27]
	v_mul_f64 v[42:43], v[28:29], s[18:19]
	;; [unrolled: 3-line block ×8, first 2 shown]
	v_add_f64 v[26:27], v[198:199], v[32:33]
	v_add_f64 v[32:33], v[48:49], v[24:25]
	v_add_f64 v[24:25], v[48:49], -v[24:25]
	v_fma_f64 v[36:37], s[28:29], v[30:31], v[34:35]
	v_fma_f64 v[34:35], v[30:31], s[28:29], -v[34:35]
	v_fma_f64 v[44:45], s[20:21], v[30:31], v[42:43]
	v_fma_f64 v[42:43], v[30:31], s[20:21], -v[42:43]
	;; [unrolled: 2-line block ×8, first 2 shown]
	v_add_f64 v[30:31], v[46:47], v[22:23]
	v_add_f64 v[22:23], v[46:47], -v[22:23]
	v_mul_f64 v[46:47], v[24:25], s[18:19]
	v_add_f64 v[36:37], v[196:197], v[36:37]
	v_fma_f64 v[48:49], s[20:21], v[30:31], v[46:47]
	v_add_f64 v[34:35], v[196:197], v[34:35]
	v_add_f64 v[36:37], v[48:49], v[36:37]
	v_mul_f64 v[48:49], v[32:33], s[20:21]
	v_fma_f64 v[46:47], v[30:31], s[20:21], -v[46:47]
	v_add_f64 v[38:39], v[198:199], v[38:39]
	v_fma_f64 v[126:127], s[22:23], v[22:23], v[48:49]
	v_add_f64 v[34:35], v[46:47], v[34:35]
	v_fmac_f64_e32 v[48:49], s[18:19], v[22:23]
	v_mul_f64 v[46:47], v[24:25], s[0:1]
	v_add_f64 v[44:45], v[196:197], v[44:45]
	v_add_f64 v[38:39], v[48:49], v[38:39]
	v_fma_f64 v[48:49], s[8:9], v[30:31], v[46:47]
	v_add_f64 v[40:41], v[198:199], v[40:41]
	v_add_f64 v[44:45], v[48:49], v[44:45]
	v_mul_f64 v[48:49], v[32:33], s[8:9]
	v_add_f64 v[42:43], v[196:197], v[42:43]
	v_add_f64 v[50:51], v[198:199], v[50:51]
	v_add_f64 v[40:41], v[126:127], v[40:41]
	v_fma_f64 v[126:127], s[10:11], v[22:23], v[48:49]
	v_fma_f64 v[46:47], v[30:31], s[8:9], -v[46:47]
	v_fmac_f64_e32 v[48:49], s[0:1], v[22:23]
	v_add_f64 v[42:43], v[46:47], v[42:43]
	v_add_f64 v[46:47], v[48:49], v[50:51]
	v_mul_f64 v[48:49], v[24:25], s[38:39]
	v_add_f64 v[56:57], v[196:197], v[56:57]
	v_fma_f64 v[50:51], s[40:41], v[30:31], v[48:49]
	v_add_f64 v[52:53], v[198:199], v[52:53]
	v_add_f64 v[50:51], v[50:51], v[56:57]
	v_mul_f64 v[56:57], v[32:33], s[40:41]
	v_add_f64 v[54:55], v[196:197], v[54:55]
	v_add_f64 v[58:59], v[198:199], v[58:59]
	v_add_f64 v[52:53], v[126:127], v[52:53]
	v_fma_f64 v[126:127], s[42:43], v[22:23], v[56:57]
	v_fma_f64 v[48:49], v[30:31], s[40:41], -v[48:49]
	v_fmac_f64_e32 v[56:57], s[38:39], v[22:23]
	v_add_f64 v[48:49], v[48:49], v[54:55]
	v_add_f64 v[54:55], v[56:57], v[58:59]
	v_mul_f64 v[56:57], v[24:25], s[50:51]
	;; [unrolled: 14-line block ×5, first 2 shown]
	v_add_f64 v[116:117], v[196:197], v[116:117]
	v_fma_f64 v[110:111], s[14:15], v[30:31], v[108:109]
	v_add_f64 v[112:113], v[198:199], v[112:113]
	v_add_f64 v[110:111], v[110:111], v[116:117]
	v_mul_f64 v[116:117], v[32:33], s[14:15]
	v_add_f64 v[114:115], v[196:197], v[114:115]
	v_add_f64 v[118:119], v[198:199], v[118:119]
	;; [unrolled: 1-line block ×3, first 2 shown]
	v_fma_f64 v[126:127], s[12:13], v[22:23], v[116:117]
	v_fma_f64 v[108:109], v[30:31], s[14:15], -v[108:109]
	v_fmac_f64_e32 v[116:117], s[16:17], v[22:23]
	v_mul_f64 v[24:25], v[24:25], s[34:35]
	v_add_f64 v[28:29], v[196:197], v[28:29]
	v_add_f64 v[108:109], v[108:109], v[114:115]
	;; [unrolled: 1-line block ×3, first 2 shown]
	v_fma_f64 v[116:117], s[28:29], v[30:31], v[24:25]
	v_mul_f64 v[32:33], v[32:33], s[28:29]
	v_fma_f64 v[24:25], v[30:31], s[28:29], -v[24:25]
	v_fma_f64 v[118:119], s[26:27], v[22:23], v[32:33]
	v_add_f64 v[24:25], v[24:25], v[28:29]
	v_fmac_f64_e32 v[32:33], s[34:35], v[22:23]
	v_add_f64 v[28:29], v[204:205], v[20:21]
	v_add_f64 v[20:21], v[204:205], -v[20:21]
	v_add_f64 v[22:23], v[32:33], v[26:27]
	v_add_f64 v[26:27], v[202:203], v[18:19]
	v_mul_f64 v[30:31], v[20:21], s[12:13]
	v_fma_f64 v[32:33], s[14:15], v[26:27], v[30:31]
	v_add_f64 v[122:123], v[196:197], v[122:123]
	v_add_f64 v[18:19], v[202:203], -v[18:19]
	v_add_f64 v[32:33], v[32:33], v[36:37]
	v_mul_f64 v[36:37], v[28:29], s[14:15]
	v_add_f64 v[116:117], v[116:117], v[122:123]
	v_fma_f64 v[122:123], s[16:17], v[18:19], v[36:37]
	v_fma_f64 v[30:31], v[26:27], s[14:15], -v[30:31]
	v_fmac_f64_e32 v[36:37], s[12:13], v[18:19]
	v_add_f64 v[30:31], v[30:31], v[34:35]
	v_add_f64 v[34:35], v[36:37], v[38:39]
	v_mul_f64 v[36:37], v[20:21], s[38:39]
	v_fma_f64 v[38:39], s[40:41], v[26:27], v[36:37]
	v_add_f64 v[38:39], v[38:39], v[44:45]
	v_mul_f64 v[44:45], v[28:29], s[40:41]
	v_add_f64 v[40:41], v[122:123], v[40:41]
	v_fma_f64 v[122:123], s[42:43], v[18:19], v[44:45]
	v_fma_f64 v[36:37], v[26:27], s[40:41], -v[36:37]
	v_fmac_f64_e32 v[44:45], s[38:39], v[18:19]
	v_add_f64 v[36:37], v[36:37], v[42:43]
	v_add_f64 v[42:43], v[44:45], v[46:47]
	v_mul_f64 v[44:45], v[20:21], s[54:55]
	v_fma_f64 v[46:47], s[52:53], v[26:27], v[44:45]
	;; [unrolled: 10-line block ×6, first 2 shown]
	v_add_f64 v[106:107], v[106:107], v[110:111]
	v_mul_f64 v[110:111], v[28:29], s[8:9]
	v_add_f64 v[112:113], v[122:123], v[112:113]
	v_fma_f64 v[122:123], s[10:11], v[18:19], v[110:111]
	v_fma_f64 v[102:103], v[26:27], s[8:9], -v[102:103]
	v_fmac_f64_e32 v[110:111], s[0:1], v[18:19]
	v_mul_f64 v[20:21], v[20:21], s[44:45]
	v_mul_f64 v[28:29], v[28:29], s[46:47]
	v_add_f64 v[102:103], v[102:103], v[108:109]
	v_add_f64 v[108:109], v[110:111], v[114:115]
	v_fma_f64 v[110:111], s[46:47], v[26:27], v[20:21]
	v_fma_f64 v[114:115], s[48:49], v[18:19], v[28:29]
	v_fma_f64 v[20:21], v[26:27], s[46:47], -v[20:21]
	v_fmac_f64_e32 v[28:29], s[44:45], v[18:19]
	v_add_f64 v[26:27], v[200:201], -v[90:91]
	v_add_f64 v[18:19], v[28:29], v[22:23]
	v_add_f64 v[22:23], v[14:15], v[88:89]
	v_mul_f64 v[28:29], v[26:27], s[0:1]
	v_add_f64 v[20:21], v[20:21], v[24:25]
	v_add_f64 v[24:25], v[200:201], v[90:91]
	v_add_f64 v[14:15], v[14:15], -v[88:89]
	v_fma_f64 v[88:89], s[8:9], v[22:23], v[28:29]
	v_add_f64 v[32:33], v[88:89], v[32:33]
	v_mul_f64 v[88:89], v[24:25], s[8:9]
	v_fma_f64 v[90:91], s[10:11], v[14:15], v[88:89]
	v_fma_f64 v[28:29], v[22:23], s[8:9], -v[28:29]
	v_fmac_f64_e32 v[88:89], s[0:1], v[14:15]
	v_add_f64 v[28:29], v[28:29], v[30:31]
	v_add_f64 v[30:31], v[88:89], v[34:35]
	v_mul_f64 v[34:35], v[26:27], s[50:51]
	v_fma_f64 v[88:89], s[52:53], v[22:23], v[34:35]
	v_add_f64 v[38:39], v[88:89], v[38:39]
	v_mul_f64 v[88:89], v[24:25], s[52:53]
	v_add_f64 v[40:41], v[90:91], v[40:41]
	v_fma_f64 v[90:91], s[54:55], v[14:15], v[88:89]
	v_fma_f64 v[34:35], v[22:23], s[52:53], -v[34:35]
	v_fmac_f64_e32 v[88:89], s[50:51], v[14:15]
	v_add_f64 v[34:35], v[34:35], v[36:37]
	v_add_f64 v[36:37], v[88:89], v[42:43]
	v_mul_f64 v[42:43], v[26:27], s[36:37]
	v_fma_f64 v[88:89], s[30:31], v[22:23], v[42:43]
	v_add_f64 v[46:47], v[88:89], v[46:47]
	v_mul_f64 v[88:89], v[24:25], s[30:31]
	v_add_f64 v[52:53], v[90:91], v[52:53]
	v_fma_f64 v[90:91], s[24:25], v[14:15], v[88:89]
	v_fma_f64 v[42:43], v[22:23], s[30:31], -v[42:43]
	v_fmac_f64_e32 v[88:89], s[36:37], v[14:15]
	v_add_f64 v[42:43], v[42:43], v[44:45]
	v_add_f64 v[44:45], v[88:89], v[48:49]
	v_mul_f64 v[48:49], v[26:27], s[34:35]
	v_fma_f64 v[88:89], s[28:29], v[22:23], v[48:49]
	v_add_f64 v[54:55], v[88:89], v[54:55]
	v_mul_f64 v[88:89], v[24:25], s[28:29]
	v_add_f64 v[60:61], v[90:91], v[60:61]
	v_fma_f64 v[90:91], s[26:27], v[14:15], v[88:89]
	v_fma_f64 v[48:49], v[22:23], s[28:29], -v[48:49]
	v_fmac_f64_e32 v[88:89], s[34:35], v[14:15]
	v_add_f64 v[48:49], v[48:49], v[50:51]
	v_add_f64 v[50:51], v[88:89], v[56:57]
	v_mul_f64 v[56:57], v[26:27], s[12:13]
	v_fma_f64 v[88:89], s[14:15], v[22:23], v[56:57]
	v_add_f64 v[62:63], v[88:89], v[62:63]
	v_mul_f64 v[88:89], v[24:25], s[14:15]
	v_add_f64 v[90:91], v[90:91], v[94:95]
	v_fma_f64 v[94:95], s[16:17], v[14:15], v[88:89]
	v_fma_f64 v[56:57], v[22:23], s[14:15], -v[56:57]
	v_fmac_f64_e32 v[88:89], s[12:13], v[14:15]
	v_add_f64 v[56:57], v[56:57], v[58:59]
	v_add_f64 v[58:59], v[88:89], v[64:65]
	v_mul_f64 v[64:65], v[26:27], s[44:45]
	v_fma_f64 v[88:89], s[46:47], v[22:23], v[64:65]
	v_add_f64 v[88:89], v[88:89], v[98:99]
	v_mul_f64 v[98:99], v[24:25], s[46:47]
	v_add_f64 v[94:95], v[94:95], v[104:105]
	v_fma_f64 v[104:105], s[48:49], v[14:15], v[98:99]
	v_fma_f64 v[64:65], v[22:23], s[46:47], -v[64:65]
	v_fmac_f64_e32 v[98:99], s[44:45], v[14:15]
	v_add_f64 v[64:65], v[64:65], v[66:67]
	v_add_f64 v[66:67], v[98:99], v[100:101]
	v_mul_f64 v[98:99], v[26:27], s[42:43]
	v_fma_f64 v[100:101], s[40:41], v[22:23], v[98:99]
	v_add_f64 v[100:101], v[100:101], v[106:107]
	v_mul_f64 v[106:107], v[24:25], s[40:41]
	v_add_f64 v[104:105], v[104:105], v[112:113]
	v_fma_f64 v[112:113], s[38:39], v[14:15], v[106:107]
	v_fma_f64 v[98:99], v[22:23], s[40:41], -v[98:99]
	v_fmac_f64_e32 v[106:107], s[42:43], v[14:15]
	v_mul_f64 v[26:27], v[26:27], s[22:23]
	v_add_f64 v[98:99], v[98:99], v[102:103]
	v_add_f64 v[102:103], v[106:107], v[108:109]
	v_fma_f64 v[106:107], s[20:21], v[22:23], v[26:27]
	v_mul_f64 v[24:25], v[24:25], s[20:21]
	v_fma_f64 v[22:23], v[22:23], s[20:21], -v[26:27]
	v_fma_f64 v[108:109], s[18:19], v[14:15], v[24:25]
	v_add_f64 v[20:21], v[22:23], v[20:21]
	v_fmac_f64_e32 v[24:25], s[22:23], v[14:15]
	v_add_f64 v[22:23], v[8:9], v[12:13]
	v_add_f64 v[8:9], v[8:9], -v[12:13]
	v_add_f64 v[14:15], v[24:25], v[18:19]
	v_add_f64 v[18:19], v[6:7], v[10:11]
	v_add_f64 v[6:7], v[6:7], -v[10:11]
	v_mul_f64 v[10:11], v[8:9], s[24:25]
	v_fma_f64 v[12:13], s[30:31], v[18:19], v[10:11]
	v_mul_f64 v[24:25], v[22:23], s[30:31]
	v_fma_f64 v[10:11], v[18:19], s[30:31], -v[10:11]
	v_fma_f64 v[26:27], s[36:37], v[6:7], v[24:25]
	v_add_f64 v[10:11], v[10:11], v[28:29]
	v_fmac_f64_e32 v[24:25], s[24:25], v[6:7]
	v_mul_f64 v[28:29], v[8:9], s[48:49]
	v_add_f64 v[12:13], v[12:13], v[32:33]
	v_add_f64 v[24:25], v[24:25], v[30:31]
	v_fma_f64 v[30:31], s[46:47], v[18:19], v[28:29]
	v_mul_f64 v[32:33], v[22:23], s[46:47]
	v_fma_f64 v[28:29], v[18:19], s[46:47], -v[28:29]
	v_add_f64 v[30:31], v[30:31], v[38:39]
	v_fma_f64 v[38:39], s[44:45], v[6:7], v[32:33]
	v_add_f64 v[28:29], v[28:29], v[34:35]
	v_fmac_f64_e32 v[32:33], s[48:49], v[6:7]
	v_mul_f64 v[34:35], v[8:9], s[22:23]
	v_add_f64 v[26:27], v[26:27], v[40:41]
	v_add_f64 v[32:33], v[32:33], v[36:37]
	v_fma_f64 v[36:37], s[20:21], v[18:19], v[34:35]
	v_mul_f64 v[40:41], v[22:23], s[20:21]
	v_fma_f64 v[34:35], v[18:19], s[20:21], -v[34:35]
	v_add_f64 v[36:37], v[36:37], v[46:47]
	v_fma_f64 v[46:47], s[18:19], v[6:7], v[40:41]
	v_add_f64 v[34:35], v[34:35], v[42:43]
	v_fmac_f64_e32 v[40:41], s[22:23], v[6:7]
	v_mul_f64 v[42:43], v[8:9], s[12:13]
	v_add_f64 v[38:39], v[38:39], v[52:53]
	v_add_f64 v[40:41], v[40:41], v[44:45]
	v_fma_f64 v[44:45], s[14:15], v[18:19], v[42:43]
	v_mul_f64 v[52:53], v[22:23], s[14:15]
	v_add_f64 v[44:45], v[44:45], v[54:55]
	v_fma_f64 v[54:55], s[16:17], v[6:7], v[52:53]
	v_fma_f64 v[42:43], v[18:19], s[14:15], -v[42:43]
	v_fmac_f64_e32 v[52:53], s[12:13], v[6:7]
	v_add_f64 v[42:43], v[42:43], v[48:49]
	v_add_f64 v[48:49], v[52:53], v[50:51]
	v_mul_f64 v[50:51], v[8:9], s[50:51]
	v_add_f64 v[46:47], v[46:47], v[60:61]
	v_fma_f64 v[52:53], s[52:53], v[18:19], v[50:51]
	v_mul_f64 v[60:61], v[22:23], s[52:53]
	v_add_f64 v[52:53], v[52:53], v[62:63]
	v_fma_f64 v[62:63], s[54:55], v[6:7], v[60:61]
	v_fma_f64 v[50:51], v[18:19], s[52:53], -v[50:51]
	v_fmac_f64_e32 v[60:61], s[50:51], v[6:7]
	v_add_f64 v[50:51], v[50:51], v[56:57]
	v_add_f64 v[56:57], v[60:61], v[58:59]
	v_mul_f64 v[58:59], v[8:9], s[10:11]
	v_fma_f64 v[60:61], s[8:9], v[18:19], v[58:59]
	v_add_f64 v[60:61], v[60:61], v[88:89]
	v_mul_f64 v[88:89], v[22:23], s[8:9]
	v_add_f64 v[54:55], v[54:55], v[90:91]
	v_fma_f64 v[90:91], s[0:1], v[6:7], v[88:89]
	v_fma_f64 v[58:59], v[18:19], s[8:9], -v[58:59]
	v_fmac_f64_e32 v[88:89], s[10:11], v[6:7]
	v_add_f64 v[58:59], v[58:59], v[64:65]
	v_add_f64 v[64:65], v[88:89], v[66:67]
	v_mul_f64 v[66:67], v[8:9], s[26:27]
	v_add_f64 v[62:63], v[62:63], v[94:95]
	v_fma_f64 v[88:89], s[28:29], v[18:19], v[66:67]
	v_mul_f64 v[94:95], v[22:23], s[28:29]
	v_add_f64 v[88:89], v[88:89], v[100:101]
	v_fma_f64 v[100:101], s[34:35], v[6:7], v[94:95]
	v_fma_f64 v[66:67], v[18:19], s[28:29], -v[66:67]
	v_fmac_f64_e32 v[94:95], s[26:27], v[6:7]
	v_mul_f64 v[8:9], v[8:9], s[38:39]
	v_mul_f64 v[22:23], v[22:23], s[40:41]
	v_add_f64 v[66:67], v[66:67], v[98:99]
	v_add_f64 v[94:95], v[94:95], v[102:103]
	v_fma_f64 v[98:99], s[40:41], v[18:19], v[8:9]
	v_fma_f64 v[102:103], s[42:43], v[6:7], v[22:23]
	v_fma_f64 v[8:9], v[18:19], s[40:41], -v[8:9]
	v_fmac_f64_e32 v[22:23], s[38:39], v[6:7]
	v_add_f64 v[18:19], v[92:93], v[4:5]
	v_add_f64 v[4:5], v[92:93], -v[4:5]
	v_add_f64 v[8:9], v[8:9], v[20:21]
	v_add_f64 v[6:7], v[22:23], v[14:15]
	;; [unrolled: 1-line block ×3, first 2 shown]
	v_mul_f64 v[20:21], v[4:5], s[38:39]
	v_fma_f64 v[22:23], s[40:41], v[14:15], v[20:21]
	v_add_f64 v[2:3], v[96:97], -v[2:3]
	v_add_f64 v[12:13], v[22:23], v[12:13]
	v_mul_f64 v[22:23], v[18:19], s[40:41]
	v_fma_f64 v[92:93], s[42:43], v[2:3], v[22:23]
	v_fma_f64 v[20:21], v[14:15], s[40:41], -v[20:21]
	v_fmac_f64_e32 v[22:23], s[38:39], v[2:3]
	v_add_f64 v[10:11], v[20:21], v[10:11]
	v_add_f64 v[20:21], v[22:23], v[24:25]
	v_mul_f64 v[22:23], v[4:5], s[36:37]
	v_fma_f64 v[24:25], s[30:31], v[14:15], v[22:23]
	v_add_f64 v[24:25], v[24:25], v[30:31]
	v_mul_f64 v[30:31], v[18:19], s[30:31]
	v_add_f64 v[26:27], v[92:93], v[26:27]
	v_fma_f64 v[92:93], s[24:25], v[2:3], v[30:31]
	v_fma_f64 v[22:23], v[14:15], s[30:31], -v[22:23]
	v_fmac_f64_e32 v[30:31], s[36:37], v[2:3]
	v_add_f64 v[22:23], v[22:23], v[28:29]
	v_add_f64 v[28:29], v[30:31], v[32:33]
	v_mul_f64 v[30:31], v[4:5], s[26:27]
	v_fma_f64 v[32:33], s[28:29], v[14:15], v[30:31]
	v_add_f64 v[32:33], v[32:33], v[36:37]
	v_mul_f64 v[36:37], v[18:19], s[28:29]
	v_add_f64 v[38:39], v[92:93], v[38:39]
	v_fma_f64 v[92:93], s[34:35], v[2:3], v[36:37]
	v_fma_f64 v[30:31], v[14:15], s[28:29], -v[30:31]
	v_fmac_f64_e32 v[36:37], s[26:27], v[2:3]
	v_add_f64 v[30:31], v[30:31], v[34:35]
	v_add_f64 v[34:35], v[36:37], v[40:41]
	v_mul_f64 v[36:37], v[4:5], s[44:45]
	v_fma_f64 v[40:41], s[46:47], v[14:15], v[36:37]
	v_add_f64 v[40:41], v[40:41], v[44:45]
	v_mul_f64 v[44:45], v[18:19], s[46:47]
	v_add_f64 v[46:47], v[92:93], v[46:47]
	v_fma_f64 v[92:93], s[48:49], v[2:3], v[44:45]
	v_fma_f64 v[36:37], v[14:15], s[46:47], -v[36:37]
	v_fmac_f64_e32 v[44:45], s[44:45], v[2:3]
	v_add_f64 v[36:37], v[36:37], v[42:43]
	v_add_f64 v[42:43], v[44:45], v[48:49]
	v_mul_f64 v[44:45], v[4:5], s[10:11]
	v_fma_f64 v[48:49], s[8:9], v[14:15], v[44:45]
	v_add_f64 v[48:49], v[48:49], v[52:53]
	v_mul_f64 v[52:53], v[18:19], s[8:9]
	v_add_f64 v[54:55], v[92:93], v[54:55]
	v_fma_f64 v[92:93], s[0:1], v[2:3], v[52:53]
	v_fma_f64 v[44:45], v[14:15], s[8:9], -v[44:45]
	v_fmac_f64_e32 v[52:53], s[10:11], v[2:3]
	v_add_f64 v[44:45], v[44:45], v[50:51]
	v_add_f64 v[50:51], v[52:53], v[56:57]
	v_mul_f64 v[52:53], v[4:5], s[18:19]
	v_fma_f64 v[56:57], s[20:21], v[14:15], v[52:53]
	v_add_f64 v[56:57], v[56:57], v[60:61]
	v_mul_f64 v[60:61], v[18:19], s[20:21]
	v_add_f64 v[62:63], v[92:93], v[62:63]
	v_fma_f64 v[92:93], s[22:23], v[2:3], v[60:61]
	v_fma_f64 v[52:53], v[14:15], s[20:21], -v[52:53]
	v_fmac_f64_e32 v[60:61], s[18:19], v[2:3]
	v_add_f64 v[52:53], v[52:53], v[58:59]
	v_add_f64 v[58:59], v[60:61], v[64:65]
	v_mul_f64 v[60:61], v[4:5], s[50:51]
	v_fma_f64 v[64:65], s[52:53], v[14:15], v[60:61]
	v_add_f64 v[90:91], v[90:91], v[104:105]
	v_add_f64 v[64:65], v[64:65], v[88:89]
	v_mul_f64 v[88:89], v[18:19], s[52:53]
	v_add_f64 v[90:91], v[92:93], v[90:91]
	v_fma_f64 v[92:93], s[54:55], v[2:3], v[88:89]
	v_fma_f64 v[60:61], v[14:15], s[52:53], -v[60:61]
	v_fmac_f64_e32 v[88:89], s[50:51], v[2:3]
	v_mul_f64 v[18:19], v[18:19], s[14:15]
	v_add_f64 v[60:61], v[60:61], v[66:67]
	v_add_f64 v[66:67], v[88:89], v[94:95]
	v_fma_f64 v[94:95], s[12:13], v[2:3], v[18:19]
	v_fmac_f64_e32 v[18:19], s[16:17], v[2:3]
	v_mul_f64 v[4:5], v[4:5], s[16:17]
	v_add_f64 v[2:3], v[18:19], v[6:7]
	v_add_f64 v[18:19], v[82:83], -v[86:87]
	v_fma_f64 v[88:89], s[14:15], v[14:15], v[4:5]
	v_fma_f64 v[4:5], v[14:15], s[14:15], -v[4:5]
	v_add_f64 v[6:7], v[80:81], v[84:85]
	v_add_f64 v[14:15], v[80:81], -v[84:85]
	v_mul_f64 v[80:81], v[18:19], s[44:45]
	v_add_f64 v[4:5], v[4:5], v[8:9]
	v_add_f64 v[8:9], v[82:83], v[86:87]
	v_fma_f64 v[82:83], s[46:47], v[6:7], v[80:81]
	v_add_f64 v[12:13], v[82:83], v[12:13]
	v_mul_f64 v[82:83], v[8:9], s[46:47]
	v_fma_f64 v[80:81], v[6:7], s[46:47], -v[80:81]
	v_fma_f64 v[84:85], s[48:49], v[14:15], v[82:83]
	v_add_f64 v[10:11], v[80:81], v[10:11]
	v_fmac_f64_e32 v[82:83], s[44:45], v[14:15]
	v_mul_f64 v[80:81], v[18:19], s[16:17]
	v_add_f64 v[20:21], v[82:83], v[20:21]
	v_fma_f64 v[82:83], s[14:15], v[6:7], v[80:81]
	v_add_f64 v[24:25], v[82:83], v[24:25]
	v_mul_f64 v[82:83], v[8:9], s[14:15]
	v_fma_f64 v[80:81], v[6:7], s[14:15], -v[80:81]
	v_add_f64 v[26:27], v[84:85], v[26:27]
	v_fma_f64 v[84:85], s[12:13], v[14:15], v[82:83]
	v_add_f64 v[22:23], v[80:81], v[22:23]
	v_fmac_f64_e32 v[82:83], s[16:17], v[14:15]
	v_mul_f64 v[80:81], v[18:19], s[0:1]
	v_add_f64 v[28:29], v[82:83], v[28:29]
	v_fma_f64 v[82:83], s[8:9], v[6:7], v[80:81]
	v_add_f64 v[32:33], v[82:83], v[32:33]
	v_mul_f64 v[82:83], v[8:9], s[8:9]
	v_fma_f64 v[80:81], v[6:7], s[8:9], -v[80:81]
	v_add_f64 v[38:39], v[84:85], v[38:39]
	;; [unrolled: 10-line block ×4, first 2 shown]
	v_fma_f64 v[84:85], s[34:35], v[14:15], v[82:83]
	v_add_f64 v[44:45], v[80:81], v[44:45]
	v_fmac_f64_e32 v[82:83], s[26:27], v[14:15]
	v_mul_f64 v[80:81], v[18:19], s[50:51]
	v_add_f64 v[120:121], v[198:199], v[120:121]
	v_add_f64 v[124:125], v[198:199], v[124:125]
	;; [unrolled: 1-line block ×3, first 2 shown]
	v_fma_f64 v[82:83], s[52:53], v[6:7], v[80:81]
	v_add_f64 v[120:121], v[126:127], v[120:121]
	v_add_f64 v[118:119], v[118:119], v[124:125]
	;; [unrolled: 1-line block ×4, first 2 shown]
	v_mul_f64 v[82:83], v[8:9], s[52:53]
	v_fma_f64 v[80:81], v[6:7], s[52:53], -v[80:81]
	v_add_f64 v[120:121], v[122:123], v[120:121]
	v_add_f64 v[114:115], v[114:115], v[118:119]
	;; [unrolled: 1-line block ×4, first 2 shown]
	v_fma_f64 v[84:85], s[54:55], v[14:15], v[82:83]
	v_add_f64 v[52:53], v[80:81], v[52:53]
	v_fmac_f64_e32 v[82:83], s[50:51], v[14:15]
	v_mul_f64 v[80:81], v[18:19], s[22:23]
	v_add_f64 v[112:113], v[112:113], v[120:121]
	v_add_f64 v[108:109], v[108:109], v[114:115]
	;; [unrolled: 1-line block ×4, first 2 shown]
	v_fma_f64 v[82:83], s[20:21], v[6:7], v[80:81]
	v_fma_f64 v[80:81], v[6:7], s[20:21], -v[80:81]
	v_mul_f64 v[18:19], v[18:19], s[24:25]
	v_add_f64 v[100:101], v[100:101], v[112:113]
	v_add_f64 v[102:103], v[102:103], v[108:109]
	v_add_f64 v[88:89], v[88:89], v[98:99]
	v_add_f64 v[64:65], v[82:83], v[64:65]
	v_mul_f64 v[82:83], v[8:9], s[20:21]
	v_add_f64 v[60:61], v[80:81], v[60:61]
	v_fma_f64 v[80:81], s[30:31], v[6:7], v[18:19]
	v_mul_f64 v[8:9], v[8:9], s[30:31]
	v_fma_f64 v[6:7], v[6:7], s[30:31], -v[18:19]
	v_add_f64 v[108:109], v[74:75], -v[78:79]
	v_add_f64 v[92:93], v[92:93], v[100:101]
	v_add_f64 v[94:95], v[94:95], v[102:103]
	;; [unrolled: 1-line block ×3, first 2 shown]
	v_fma_f64 v[80:81], s[36:37], v[14:15], v[8:9]
	v_add_f64 v[100:101], v[6:7], v[4:5]
	v_fmac_f64_e32 v[8:9], s[24:25], v[14:15]
	v_add_f64 v[102:103], v[72:73], v[76:77]
	v_add_f64 v[104:105], v[74:75], v[78:79]
	v_mul_f64 v[6:7], v[108:109], s[50:51]
	v_add_f64 v[96:97], v[84:85], v[90:91]
	v_fma_f64 v[84:85], s[18:19], v[14:15], v[82:83]
	v_fmac_f64_e32 v[82:83], s[22:23], v[14:15]
	v_add_f64 v[14:15], v[8:9], v[2:3]
	v_add_f64 v[106:107], v[72:73], -v[76:77]
	v_fma_f64 v[2:3], s[52:53], v[102:103], v[6:7]
	v_mul_f64 v[8:9], v[104:105], s[52:53]
	v_fma_f64 v[6:7], v[102:103], s[52:53], -v[6:7]
	v_add_f64 v[94:95], v[80:81], v[94:95]
	v_add_f64 v[2:3], v[2:3], v[12:13]
	v_fma_f64 v[4:5], s[54:55], v[106:107], v[8:9]
	v_add_f64 v[80:81], v[6:7], v[10:11]
	v_fmac_f64_e32 v[8:9], s[50:51], v[106:107]
	v_mul_f64 v[10:11], v[108:109], s[34:35]
	v_mul_f64 v[12:13], v[104:105], s[28:29]
	v_add_f64 v[66:67], v[82:83], v[66:67]
	v_add_f64 v[82:83], v[8:9], v[20:21]
	v_fma_f64 v[6:7], s[28:29], v[102:103], v[10:11]
	v_fma_f64 v[8:9], s[26:27], v[106:107], v[12:13]
	v_fma_f64 v[10:11], v[102:103], s[28:29], -v[10:11]
	v_fmac_f64_e32 v[12:13], s[34:35], v[106:107]
	v_mul_f64 v[18:19], v[108:109], s[44:45]
	v_mul_f64 v[20:21], v[104:105], s[46:47]
	v_add_f64 v[6:7], v[6:7], v[24:25]
	v_add_f64 v[76:77], v[10:11], v[22:23]
	;; [unrolled: 1-line block ×3, first 2 shown]
	v_fma_f64 v[10:11], s[46:47], v[102:103], v[18:19]
	v_fma_f64 v[12:13], s[48:49], v[106:107], v[20:21]
	v_fma_f64 v[18:19], v[102:103], s[46:47], -v[18:19]
	v_fmac_f64_e32 v[20:21], s[44:45], v[106:107]
	v_mul_f64 v[22:23], v[108:109], s[22:23]
	v_mul_f64 v[24:25], v[104:105], s[20:21]
	v_add_f64 v[4:5], v[4:5], v[26:27]
	v_add_f64 v[88:89], v[18:19], v[30:31]
	;; [unrolled: 1-line block ×3, first 2 shown]
	v_fma_f64 v[18:19], s[20:21], v[102:103], v[22:23]
	v_fma_f64 v[20:21], s[18:19], v[106:107], v[24:25]
	v_fma_f64 v[22:23], v[102:103], s[20:21], -v[22:23]
	v_fmac_f64_e32 v[24:25], s[22:23], v[106:107]
	v_mul_f64 v[26:27], v[108:109], s[38:39]
	v_add_f64 v[92:93], v[84:85], v[92:93]
	v_add_f64 v[18:19], v[18:19], v[40:41]
	;; [unrolled: 1-line block ×4, first 2 shown]
	v_fma_f64 v[22:23], s[40:41], v[102:103], v[26:27]
	v_fma_f64 v[26:27], v[102:103], s[40:41], -v[26:27]
	v_mul_f64 v[40:41], v[104:105], s[30:31]
	v_mul_f64 v[42:43], v[108:109], s[10:11]
	;; [unrolled: 1-line block ×3, first 2 shown]
	v_add_f64 v[72:73], v[26:27], v[44:45]
	v_fma_f64 v[36:37], s[36:37], v[106:107], v[40:41]
	v_fma_f64 v[44:45], s[8:9], v[102:103], v[42:43]
	v_add_f64 v[10:11], v[10:11], v[32:33]
	v_fma_f64 v[24:25], s[42:43], v[106:107], v[28:29]
	v_fmac_f64_e32 v[28:29], s[38:39], v[106:107]
	v_mul_f64 v[32:33], v[104:105], s[14:15]
	v_add_f64 v[36:37], v[36:37], v[92:93]
	v_add_f64 v[92:93], v[44:45], v[98:99]
	v_mul_f64 v[44:45], v[104:105], s[8:9]
	v_add_f64 v[8:9], v[8:9], v[38:39]
	v_add_f64 v[12:13], v[12:13], v[46:47]
	;; [unrolled: 1-line block ×3, first 2 shown]
	v_mul_f64 v[30:31], v[108:109], s[16:17]
	v_fma_f64 v[28:29], s[12:13], v[106:107], v[32:33]
	v_mul_f64 v[38:39], v[108:109], s[24:25]
	v_fma_f64 v[46:47], s[0:1], v[106:107], v[44:45]
	v_fma_f64 v[42:43], v[102:103], s[8:9], -v[42:43]
	v_fmac_f64_e32 v[44:45], s[10:11], v[106:107]
	v_fma_f64 v[26:27], s[14:15], v[102:103], v[30:31]
	v_add_f64 v[28:29], v[28:29], v[96:97]
	v_fma_f64 v[30:31], v[102:103], s[14:15], -v[30:31]
	v_fmac_f64_e32 v[32:33], s[16:17], v[106:107]
	v_fma_f64 v[34:35], s[30:31], v[102:103], v[38:39]
	v_fma_f64 v[38:39], v[102:103], s[30:31], -v[38:39]
	v_fmac_f64_e32 v[40:41], s[24:25], v[106:107]
	v_add_f64 v[94:95], v[46:47], v[94:95]
	v_add_f64 v[96:97], v[42:43], v[100:101]
	;; [unrolled: 1-line block ×12, first 2 shown]
	s_barrier
	ds_write_b128 v17, v[68:71]
	ds_write_b128 v17, v[2:5] offset:272
	ds_write_b128 v17, v[6:9] offset:544
	;; [unrolled: 1-line block ×16, first 2 shown]
	s_waitcnt lgkmcnt(0)
	s_barrier
	ds_read_b128 v[92:95], v0
	ds_read_b128 v[68:71], v0 offset:1632
	ds_read_b128 v[196:199], v0 offset:4624
	;; [unrolled: 1-line block ×11, first 2 shown]
	s_and_saveexec_b64 s[0:1], vcc
	s_cbranch_execz .LBB0_7
; %bb.6:
	ds_read_b128 v[72:75], v0 offset:3264
	ds_read_b128 v[84:87], v0 offset:7888
	;; [unrolled: 1-line block ×6, first 2 shown]
.LBB0_7:
	s_or_b64 exec, exec, s[0:1]
	s_waitcnt lgkmcnt(8)
	v_mul_f64 v[22:23], v[178:179], v[112:113]
	v_mul_f64 v[2:3], v[142:143], v[196:197]
	v_fma_f64 v[38:39], v[176:177], v[114:115], -v[22:23]
	s_waitcnt lgkmcnt(6)
	v_mul_f64 v[22:23], v[186:187], v[108:109]
	v_fma_f64 v[14:15], v[140:141], v[198:199], -v[2:3]
	v_mul_f64 v[2:3], v[154:155], v[130:131]
	s_waitcnt lgkmcnt(3)
	v_mul_f64 v[10:11], v[134:135], v[122:123]
	v_fma_f64 v[28:29], v[184:185], v[110:111], -v[22:23]
	v_mul_f64 v[22:23], v[174:175], v[104:105]
	v_fmac_f64_e32 v[2:3], v[152:153], v[128:129]
	v_mul_f64 v[4:5], v[154:155], v[128:129]
	v_fmac_f64_e32 v[10:11], v[132:133], v[120:121]
	v_mul_f64 v[16:17], v[134:135], v[120:121]
	v_fma_f64 v[32:33], v[172:173], v[106:107], -v[22:23]
	s_waitcnt lgkmcnt(2)
	v_mul_f64 v[22:23], v[170:171], v[100:101]
	v_fma_f64 v[4:5], v[152:153], v[130:131], -v[4:5]
	v_fma_f64 v[16:17], v[132:133], v[122:123], -v[16:17]
	;; [unrolled: 1-line block ×3, first 2 shown]
	s_waitcnt lgkmcnt(0)
	v_mul_f64 v[22:23], v[190:191], v[96:97]
	v_add_f64 v[24:25], v[2:3], v[10:11]
	s_mov_b32 s0, 0xe8584caa
	v_fma_f64 v[44:45], v[188:189], v[98:99], -v[22:23]
	v_add_f64 v[22:23], v[92:93], v[2:3]
	v_fmac_f64_e32 v[92:93], -0.5, v[24:25]
	v_add_f64 v[24:25], v[4:5], -v[16:17]
	s_mov_b32 s1, 0xbfebb67a
	s_mov_b32 s9, 0x3febb67a
	;; [unrolled: 1-line block ×3, first 2 shown]
	v_mul_f64 v[12:13], v[142:143], v[198:199]
	v_mul_f64 v[6:7], v[146:147], v[126:127]
	v_fma_f64 v[46:47], s[0:1], v[24:25], v[92:93]
	v_fmac_f64_e32 v[92:93], s[8:9], v[24:25]
	v_add_f64 v[24:25], v[94:95], v[4:5]
	v_add_f64 v[4:5], v[4:5], v[16:17]
	v_fmac_f64_e32 v[12:13], v[140:141], v[196:197]
	v_fmac_f64_e32 v[6:7], v[144:145], v[124:125]
	v_mul_f64 v[18:19], v[162:163], v[118:119]
	v_fmac_f64_e32 v[94:95], -0.5, v[4:5]
	v_add_f64 v[2:3], v[2:3], -v[10:11]
	v_mul_f64 v[8:9], v[146:147], v[124:125]
	v_fmac_f64_e32 v[18:19], v[160:161], v[116:117]
	v_mul_f64 v[20:21], v[162:163], v[116:117]
	v_fma_f64 v[48:49], s[8:9], v[2:3], v[94:95]
	v_fmac_f64_e32 v[94:95], s[0:1], v[2:3]
	v_add_f64 v[2:3], v[12:13], v[6:7]
	v_fma_f64 v[8:9], v[144:145], v[126:127], -v[8:9]
	v_fma_f64 v[20:21], v[160:161], v[118:119], -v[20:21]
	v_add_f64 v[24:25], v[24:25], v[16:17]
	v_add_f64 v[16:17], v[2:3], v[18:19]
	;; [unrolled: 1-line block ×3, first 2 shown]
	v_fmac_f64_e32 v[12:13], -0.5, v[2:3]
	v_add_f64 v[2:3], v[8:9], -v[20:21]
	v_fma_f64 v[50:51], s[0:1], v[2:3], v[12:13]
	v_fmac_f64_e32 v[12:13], s[8:9], v[2:3]
	v_add_f64 v[2:3], v[14:15], v[8:9]
	v_add_f64 v[52:53], v[2:3], v[20:21]
	;; [unrolled: 1-line block ×3, first 2 shown]
	v_fmac_f64_e32 v[14:15], -0.5, v[2:3]
	v_add_f64 v[2:3], v[6:7], -v[18:19]
	v_fma_f64 v[8:9], s[8:9], v[2:3], v[14:15]
	v_fmac_f64_e32 v[14:15], s[0:1], v[2:3]
	v_mul_f64 v[26:27], v[186:187], v[110:111]
	v_mul_f64 v[34:35], v[170:171], v[102:103]
	;; [unrolled: 1-line block ×3, first 2 shown]
	v_mul_f64 v[54:55], v[8:9], 0.5
	v_fmac_f64_e32 v[26:27], v[184:185], v[108:109]
	v_fmac_f64_e32 v[34:35], v[168:169], v[100:101]
	v_add_f64 v[22:23], v[22:23], v[10:11]
	v_mul_f64 v[18:19], v[8:9], s[0:1]
	v_fmac_f64_e32 v[20:21], -0.5, v[12:13]
	v_fmac_f64_e32 v[54:55], s[8:9], v[50:51]
	v_add_f64 v[2:3], v[22:23], v[16:17]
	v_fmac_f64_e32 v[18:19], 0.5, v[50:51]
	v_add_f64 v[10:11], v[92:93], v[20:21]
	v_add_f64 v[8:9], v[48:49], v[54:55]
	v_mul_f64 v[50:51], v[14:15], -0.5
	v_add_f64 v[14:15], v[22:23], -v[16:17]
	v_add_f64 v[22:23], v[92:93], -v[20:21]
	;; [unrolled: 1-line block ×3, first 2 shown]
	v_add_f64 v[48:49], v[26:27], v[34:35]
	v_add_f64 v[6:7], v[46:47], v[18:19]
	v_fmac_f64_e32 v[50:51], s[8:9], v[12:13]
	v_add_f64 v[18:19], v[46:47], -v[18:19]
	v_add_f64 v[46:47], v[68:69], v[26:27]
	v_fmac_f64_e32 v[68:69], -0.5, v[48:49]
	v_add_f64 v[48:49], v[28:29], -v[40:41]
	v_mul_f64 v[36:37], v[178:179], v[114:115]
	v_mul_f64 v[30:31], v[174:175], v[106:107]
	v_add_f64 v[4:5], v[24:25], v[52:53]
	v_add_f64 v[12:13], v[94:95], v[50:51]
	v_add_f64 v[16:17], v[24:25], -v[52:53]
	v_add_f64 v[24:25], v[94:95], -v[50:51]
	v_fma_f64 v[50:51], s[0:1], v[48:49], v[68:69]
	v_fmac_f64_e32 v[68:69], s[8:9], v[48:49]
	v_add_f64 v[48:49], v[70:71], v[28:29]
	v_add_f64 v[28:29], v[28:29], v[40:41]
	v_fmac_f64_e32 v[36:37], v[176:177], v[112:113]
	v_fmac_f64_e32 v[30:31], v[172:173], v[104:105]
	v_mul_f64 v[42:43], v[190:191], v[98:99]
	v_fmac_f64_e32 v[70:71], -0.5, v[28:29]
	v_add_f64 v[26:27], v[26:27], -v[34:35]
	v_fmac_f64_e32 v[42:43], v[188:189], v[96:97]
	v_fma_f64 v[52:53], s[8:9], v[26:27], v[70:71]
	v_fmac_f64_e32 v[70:71], s[0:1], v[26:27]
	v_add_f64 v[26:27], v[36:37], v[30:31]
	v_add_f64 v[48:49], v[48:49], v[40:41]
	;; [unrolled: 1-line block ×4, first 2 shown]
	v_fmac_f64_e32 v[36:37], -0.5, v[26:27]
	v_add_f64 v[26:27], v[32:33], -v[44:45]
	v_fma_f64 v[54:55], s[0:1], v[26:27], v[36:37]
	v_fmac_f64_e32 v[36:37], s[8:9], v[26:27]
	v_add_f64 v[26:27], v[38:39], v[32:33]
	v_add_f64 v[56:57], v[26:27], v[44:45]
	;; [unrolled: 1-line block ×3, first 2 shown]
	v_fmac_f64_e32 v[38:39], -0.5, v[26:27]
	v_add_f64 v[26:27], v[30:31], -v[42:43]
	v_fma_f64 v[32:33], s[8:9], v[26:27], v[38:39]
	v_fmac_f64_e32 v[38:39], s[0:1], v[26:27]
	v_mul_f64 v[42:43], v[32:33], s[0:1]
	v_mul_f64 v[58:59], v[32:33], 0.5
	v_fmac_f64_e32 v[42:43], 0.5, v[54:55]
	v_mul_f64 v[44:45], v[38:39], s[0:1]
	v_fmac_f64_e32 v[58:59], s[8:9], v[54:55]
	v_mul_f64 v[54:55], v[38:39], -0.5
	v_add_f64 v[46:47], v[46:47], v[34:35]
	v_fmac_f64_e32 v[44:45], -0.5, v[36:37]
	v_fmac_f64_e32 v[54:55], s[8:9], v[36:37]
	v_add_f64 v[26:27], v[46:47], v[40:41]
	v_add_f64 v[30:31], v[50:51], v[42:43]
	v_add_f64 v[34:35], v[68:69], v[44:45]
	v_add_f64 v[28:29], v[48:49], v[56:57]
	v_add_f64 v[32:33], v[52:53], v[58:59]
	v_add_f64 v[36:37], v[70:71], v[54:55]
	v_add_f64 v[38:39], v[46:47], -v[40:41]
	v_add_f64 v[92:93], v[50:51], -v[42:43]
	;; [unrolled: 1-line block ×6, first 2 shown]
	ds_write_b128 v0, v[2:5]
	ds_write_b128 v0, v[6:9] offset:4624
	ds_write_b128 v0, v[10:13] offset:9248
	;; [unrolled: 1-line block ×11, first 2 shown]
	s_and_saveexec_b64 s[10:11], vcc
	s_cbranch_execz .LBB0_9
; %bb.8:
	v_mul_f64 v[2:3], v[166:167], v[88:89]
	v_mul_f64 v[4:5], v[158:159], v[80:81]
	v_fma_f64 v[2:3], v[164:165], v[90:91], -v[2:3]
	v_fma_f64 v[6:7], v[156:157], v[82:83], -v[4:5]
	v_mul_f64 v[22:23], v[150:151], v[78:79]
	v_mul_f64 v[24:25], v[182:183], v[194:195]
	v_add_f64 v[4:5], v[2:3], v[6:7]
	v_mul_f64 v[20:21], v[138:139], v[86:87]
	v_fmac_f64_e32 v[22:23], v[148:149], v[76:77]
	v_fmac_f64_e32 v[24:25], v[180:181], v[192:193]
	v_fma_f64 v[14:15], -0.5, v[4:5], v[74:75]
	v_fmac_f64_e32 v[20:21], v[136:137], v[84:85]
	v_add_f64 v[4:5], v[22:23], v[24:25]
	v_fma_f64 v[26:27], -0.5, v[4:5], v[20:21]
	v_mul_f64 v[4:5], v[150:151], v[76:77]
	v_fma_f64 v[12:13], v[148:149], v[78:79], -v[4:5]
	v_mul_f64 v[4:5], v[182:183], v[192:193]
	v_fma_f64 v[28:29], v[180:181], v[194:195], -v[4:5]
	;; [unrolled: 2-line block ×3, first 2 shown]
	v_add_f64 v[4:5], v[12:13], v[28:29]
	v_fma_f64 v[36:37], -0.5, v[4:5], v[34:35]
	v_add_f64 v[38:39], v[22:23], -v[24:25]
	v_mul_f64 v[10:11], v[166:167], v[90:91]
	v_mul_f64 v[16:17], v[158:159], v[82:83]
	v_add_f64 v[30:31], v[12:13], -v[28:29]
	v_fma_f64 v[40:41], s[0:1], v[38:39], v[36:37]
	v_fmac_f64_e32 v[10:11], v[164:165], v[88:89]
	v_fmac_f64_e32 v[16:17], v[156:157], v[80:81]
	v_fma_f64 v[32:33], s[8:9], v[30:31], v[26:27]
	v_mul_f64 v[42:43], v[40:41], -0.5
	v_fmac_f64_e32 v[36:37], s[8:9], v[38:39]
	v_mul_f64 v[40:41], v[40:41], s[0:1]
	v_add_f64 v[8:9], v[10:11], -v[16:17]
	v_fmac_f64_e32 v[42:43], s[8:9], v[32:33]
	v_fmac_f64_e32 v[26:27], s[0:1], v[30:31]
	v_mul_f64 v[30:31], v[36:37], 0.5
	v_add_f64 v[12:13], v[34:35], v[12:13]
	v_add_f64 v[34:35], v[10:11], v[16:17]
	v_fmac_f64_e32 v[40:41], -0.5, v[32:33]
	v_mul_f64 v[32:33], v[36:37], s[0:1]
	v_add_f64 v[10:11], v[72:73], v[10:11]
	v_fmac_f64_e32 v[30:31], s[8:9], v[26:27]
	v_add_f64 v[38:39], v[74:75], v[2:3]
	v_fmac_f64_e32 v[32:33], 0.5, v[26:27]
	v_add_f64 v[26:27], v[10:11], v[16:17]
	v_add_f64 v[10:11], v[20:21], v[22:23]
	;; [unrolled: 1-line block ×4, first 2 shown]
	v_fma_f64 v[34:35], -0.5, v[34:35], v[72:73]
	v_add_f64 v[6:7], v[2:3], -v[6:7]
	v_add_f64 v[22:23], v[10:11], v[24:25]
	v_fma_f64 v[18:19], s[0:1], v[8:9], v[14:15]
	v_fmac_f64_e32 v[14:15], s[8:9], v[8:9]
	v_fma_f64 v[44:45], s[8:9], v[6:7], v[34:35]
	v_fmac_f64_e32 v[34:35], s[0:1], v[6:7]
	v_add_f64 v[10:11], v[26:27], -v[22:23]
	v_add_f64 v[24:25], v[38:39], v[28:29]
	v_add_f64 v[22:23], v[26:27], v[22:23]
	v_add_f64 v[4:5], v[18:19], -v[42:43]
	v_add_f64 v[8:9], v[14:15], -v[30:31]
	;; [unrolled: 1-line block ×5, first 2 shown]
	v_add_f64 v[16:17], v[18:19], v[42:43]
	v_add_f64 v[20:21], v[14:15], v[30:31]
	;; [unrolled: 1-line block ×4, first 2 shown]
	ds_write_b128 v0, v[22:25] offset:3264
	ds_write_b128 v0, v[18:21] offset:7888
	;; [unrolled: 1-line block ×6, first 2 shown]
.LBB0_9:
	s_or_b64 exec, exec, s[10:11]
	s_waitcnt lgkmcnt(0)
	s_barrier
	ds_read_b128 v[2:5], v0
	v_accvgpr_read_b32 v8, a2
	v_mad_u64_u32 v[16:17], s[0:1], s6, v8, 0
	v_mov_b32_e32 v6, v17
	v_accvgpr_read_b32 v21, a7
	v_mad_u64_u32 v[6:7], s[0:1], s7, v8, v[6:7]
	v_accvgpr_read_b32 v20, a6
	v_mov_b32_e32 v17, v6
	ds_read_b128 v[6:9], v0 offset:1632
	v_accvgpr_read_b32 v19, a5
	v_accvgpr_read_b32 v18, a4
	s_waitcnt lgkmcnt(1)
	v_mul_f64 v[10:11], v[20:21], v[4:5]
	v_fmac_f64_e32 v[10:11], v[18:19], v[2:3]
	s_mov_b32 s0, 0x8b5e3104
	v_mul_f64 v[2:3], v[20:21], v[2:3]
	s_mov_b32 s1, 0x3f42e5b8
	v_fma_f64 v[2:3], v[18:19], v[4:5], -v[2:3]
	v_accvgpr_read_b32 v1, a0
	v_mov_b32_e32 v14, s2
	v_mov_b32_e32 v15, s3
	v_mul_f64 v[12:13], v[2:3], s[0:1]
	v_mad_u64_u32 v[2:3], s[2:3], s4, v1, 0
	v_mov_b32_e32 v4, v3
	v_mad_u64_u32 v[4:5], s[2:3], s5, v1, v[4:5]
	v_mov_b32_e32 v3, v4
	v_lshl_add_u64 v[4:5], v[16:17], 4, v[14:15]
	v_mul_f64 v[10:11], v[10:11], s[0:1]
	v_lshl_add_u64 v[14:15], v[2:3], 4, v[4:5]
	global_store_dwordx4 v[14:15], v[10:13], off
	v_mov_b32_e32 v16, 0x660
	v_mad_u64_u32 v[14:15], s[2:3], s4, v16, v[14:15]
	v_accvgpr_read_b32 v10, a68
	v_accvgpr_read_b32 v12, a70
	;; [unrolled: 1-line block ×4, first 2 shown]
	s_waitcnt lgkmcnt(0)
	v_mul_f64 v[2:3], v[12:13], v[8:9]
	v_mul_f64 v[4:5], v[12:13], v[6:7]
	v_fmac_f64_e32 v[2:3], v[10:11], v[6:7]
	v_fma_f64 v[4:5], v[10:11], v[8:9], -v[4:5]
	ds_read_b128 v[6:9], v0 offset:3264
	s_mul_i32 s2, s5, 0x660
	v_accvgpr_read_b32 v18, a60
	v_mul_f64 v[2:3], v[2:3], s[0:1]
	v_mul_f64 v[4:5], v[4:5], s[0:1]
	v_add_u32_e32 v15, s2, v15
	v_accvgpr_read_b32 v20, a62
	v_accvgpr_read_b32 v21, a63
	global_store_dwordx4 v[14:15], v[2:5], off
	ds_read_b128 v[2:5], v0 offset:4896
	v_accvgpr_read_b32 v19, a61
	s_waitcnt lgkmcnt(1)
	v_mul_f64 v[10:11], v[20:21], v[8:9]
	v_fmac_f64_e32 v[10:11], v[18:19], v[6:7]
	v_mul_f64 v[6:7], v[20:21], v[6:7]
	v_fma_f64 v[6:7], v[18:19], v[8:9], -v[6:7]
	v_mad_u64_u32 v[14:15], s[6:7], s4, v16, v[14:15]
	v_mul_f64 v[10:11], v[10:11], s[0:1]
	v_mul_f64 v[12:13], v[6:7], s[0:1]
	v_add_u32_e32 v15, s2, v15
	global_store_dwordx4 v[14:15], v[10:13], off
	v_accvgpr_read_b32 v8, a56
	v_accvgpr_read_b32 v9, a57
	;; [unrolled: 1-line block ×4, first 2 shown]
	s_waitcnt lgkmcnt(0)
	v_mul_f64 v[6:7], v[10:11], v[4:5]
	v_fmac_f64_e32 v[6:7], v[8:9], v[2:3]
	v_mul_f64 v[2:3], v[10:11], v[2:3]
	v_fma_f64 v[2:3], v[8:9], v[4:5], -v[2:3]
	v_mul_f64 v[8:9], v[2:3], s[0:1]
	ds_read_b128 v[2:5], v0 offset:6528
	v_mad_u64_u32 v[14:15], s[6:7], s4, v16, v[14:15]
	v_accvgpr_read_b32 v18, a36
	v_mul_f64 v[6:7], v[6:7], s[0:1]
	v_add_u32_e32 v15, s2, v15
	v_accvgpr_read_b32 v20, a38
	v_accvgpr_read_b32 v21, a39
	global_store_dwordx4 v[14:15], v[6:9], off
	ds_read_b128 v[6:9], v0 offset:8160
	v_accvgpr_read_b32 v19, a37
	s_waitcnt lgkmcnt(1)
	v_mul_f64 v[10:11], v[20:21], v[4:5]
	v_fmac_f64_e32 v[10:11], v[18:19], v[2:3]
	v_mul_f64 v[2:3], v[20:21], v[2:3]
	v_fma_f64 v[2:3], v[18:19], v[4:5], -v[2:3]
	v_mad_u64_u32 v[14:15], s[6:7], s4, v16, v[14:15]
	v_mul_f64 v[10:11], v[10:11], s[0:1]
	v_mul_f64 v[12:13], v[2:3], s[0:1]
	v_add_u32_e32 v15, s2, v15
	global_store_dwordx4 v[14:15], v[10:13], off
	v_mad_u64_u32 v[14:15], s[6:7], s4, v16, v[14:15]
	s_nop 0
	v_accvgpr_read_b32 v10, a28
	v_accvgpr_read_b32 v12, a30
	;; [unrolled: 1-line block ×4, first 2 shown]
	s_waitcnt lgkmcnt(0)
	v_mul_f64 v[2:3], v[12:13], v[8:9]
	v_mul_f64 v[4:5], v[12:13], v[6:7]
	v_fmac_f64_e32 v[2:3], v[10:11], v[6:7]
	v_fma_f64 v[4:5], v[10:11], v[8:9], -v[4:5]
	ds_read_b128 v[6:9], v0 offset:9792
	v_accvgpr_read_b32 v18, a24
	v_mul_f64 v[2:3], v[2:3], s[0:1]
	v_mul_f64 v[4:5], v[4:5], s[0:1]
	v_add_u32_e32 v15, s2, v15
	v_accvgpr_read_b32 v20, a26
	v_accvgpr_read_b32 v21, a27
	global_store_dwordx4 v[14:15], v[2:5], off
	ds_read_b128 v[2:5], v0 offset:11424
	v_accvgpr_read_b32 v19, a25
	s_waitcnt lgkmcnt(1)
	v_mul_f64 v[10:11], v[20:21], v[8:9]
	v_fmac_f64_e32 v[10:11], v[18:19], v[6:7]
	v_mul_f64 v[6:7], v[20:21], v[6:7]
	v_fma_f64 v[6:7], v[18:19], v[8:9], -v[6:7]
	v_mad_u64_u32 v[14:15], s[6:7], s4, v16, v[14:15]
	v_mul_f64 v[10:11], v[10:11], s[0:1]
	v_mul_f64 v[12:13], v[6:7], s[0:1]
	v_add_u32_e32 v15, s2, v15
	global_store_dwordx4 v[14:15], v[10:13], off
	v_accvgpr_read_b32 v8, a20
	v_accvgpr_read_b32 v9, a21
	;; [unrolled: 1-line block ×4, first 2 shown]
	s_waitcnt lgkmcnt(0)
	v_mul_f64 v[6:7], v[10:11], v[4:5]
	v_fmac_f64_e32 v[6:7], v[8:9], v[2:3]
	v_mul_f64 v[2:3], v[10:11], v[2:3]
	v_fma_f64 v[2:3], v[8:9], v[4:5], -v[2:3]
	v_mul_f64 v[8:9], v[2:3], s[0:1]
	ds_read_b128 v[2:5], v0 offset:13056
	v_mad_u64_u32 v[14:15], s[6:7], s4, v16, v[14:15]
	v_accvgpr_read_b32 v21, a11
	v_mul_f64 v[6:7], v[6:7], s[0:1]
	v_add_u32_e32 v15, s2, v15
	v_accvgpr_read_b32 v20, a10
	global_store_dwordx4 v[14:15], v[6:9], off
	ds_read_b128 v[6:9], v0 offset:14688
	v_accvgpr_read_b32 v19, a9
	v_accvgpr_read_b32 v18, a8
	s_waitcnt lgkmcnt(1)
	v_mul_f64 v[10:11], v[20:21], v[4:5]
	v_fmac_f64_e32 v[10:11], v[18:19], v[2:3]
	v_mul_f64 v[2:3], v[20:21], v[2:3]
	v_fma_f64 v[2:3], v[18:19], v[4:5], -v[2:3]
	v_mad_u64_u32 v[14:15], s[6:7], s4, v16, v[14:15]
	v_mul_f64 v[10:11], v[10:11], s[0:1]
	v_mul_f64 v[12:13], v[2:3], s[0:1]
	v_add_u32_e32 v15, s2, v15
	global_store_dwordx4 v[14:15], v[10:13], off
	v_mad_u64_u32 v[14:15], s[6:7], s4, v16, v[14:15]
	s_nop 0
	v_accvgpr_read_b32 v10, a16
	v_accvgpr_read_b32 v12, a18
	;; [unrolled: 1-line block ×4, first 2 shown]
	s_waitcnt lgkmcnt(0)
	v_mul_f64 v[2:3], v[12:13], v[8:9]
	v_mul_f64 v[4:5], v[12:13], v[6:7]
	v_fmac_f64_e32 v[2:3], v[10:11], v[6:7]
	v_fma_f64 v[4:5], v[10:11], v[8:9], -v[4:5]
	ds_read_b128 v[6:9], v0 offset:16320
	v_accvgpr_read_b32 v21, a15
	v_mul_f64 v[2:3], v[2:3], s[0:1]
	v_mul_f64 v[4:5], v[4:5], s[0:1]
	v_add_u32_e32 v15, s2, v15
	v_accvgpr_read_b32 v20, a14
	global_store_dwordx4 v[14:15], v[2:5], off
	ds_read_b128 v[2:5], v0 offset:17952
	v_accvgpr_read_b32 v19, a13
	v_accvgpr_read_b32 v18, a12
	s_waitcnt lgkmcnt(1)
	v_mul_f64 v[10:11], v[20:21], v[8:9]
	v_fmac_f64_e32 v[10:11], v[18:19], v[6:7]
	v_mul_f64 v[6:7], v[20:21], v[6:7]
	v_fma_f64 v[6:7], v[18:19], v[8:9], -v[6:7]
	v_mad_u64_u32 v[14:15], s[6:7], s4, v16, v[14:15]
	v_mul_f64 v[10:11], v[10:11], s[0:1]
	v_mul_f64 v[12:13], v[6:7], s[0:1]
	v_add_u32_e32 v15, s2, v15
	global_store_dwordx4 v[14:15], v[10:13], off
	v_accvgpr_read_b32 v8, a48
	v_accvgpr_read_b32 v9, a49
	;; [unrolled: 1-line block ×4, first 2 shown]
	s_waitcnt lgkmcnt(0)
	v_mul_f64 v[6:7], v[10:11], v[4:5]
	v_fmac_f64_e32 v[6:7], v[8:9], v[2:3]
	v_mul_f64 v[2:3], v[10:11], v[2:3]
	v_fma_f64 v[2:3], v[8:9], v[4:5], -v[2:3]
	v_mul_f64 v[8:9], v[2:3], s[0:1]
	ds_read_b128 v[2:5], v0 offset:19584
	v_mad_u64_u32 v[14:15], s[6:7], s4, v16, v[14:15]
	v_accvgpr_read_b32 v18, a32
	v_mul_f64 v[6:7], v[6:7], s[0:1]
	v_add_u32_e32 v15, s2, v15
	v_accvgpr_read_b32 v20, a34
	v_accvgpr_read_b32 v21, a35
	global_store_dwordx4 v[14:15], v[6:9], off
	ds_read_b128 v[6:9], v0 offset:21216
	v_accvgpr_read_b32 v19, a33
	s_waitcnt lgkmcnt(1)
	v_mul_f64 v[10:11], v[20:21], v[4:5]
	v_fmac_f64_e32 v[10:11], v[18:19], v[2:3]
	v_mul_f64 v[2:3], v[20:21], v[2:3]
	v_fma_f64 v[2:3], v[18:19], v[4:5], -v[2:3]
	v_mad_u64_u32 v[14:15], s[6:7], s4, v16, v[14:15]
	v_mul_f64 v[10:11], v[10:11], s[0:1]
	v_mul_f64 v[12:13], v[2:3], s[0:1]
	v_add_u32_e32 v15, s2, v15
	global_store_dwordx4 v[14:15], v[10:13], off
	v_mad_u64_u32 v[14:15], s[6:7], s4, v16, v[14:15]
	s_nop 0
	v_accvgpr_read_b32 v10, a64
	v_accvgpr_read_b32 v12, a66
	;; [unrolled: 1-line block ×4, first 2 shown]
	s_waitcnt lgkmcnt(0)
	v_mul_f64 v[2:3], v[12:13], v[8:9]
	v_mul_f64 v[4:5], v[12:13], v[6:7]
	v_fmac_f64_e32 v[2:3], v[10:11], v[6:7]
	v_fma_f64 v[4:5], v[10:11], v[8:9], -v[4:5]
	ds_read_b128 v[6:9], v0 offset:22848
	v_accvgpr_read_b32 v18, a40
	v_mul_f64 v[2:3], v[2:3], s[0:1]
	v_mul_f64 v[4:5], v[4:5], s[0:1]
	v_add_u32_e32 v15, s2, v15
	v_accvgpr_read_b32 v20, a42
	v_accvgpr_read_b32 v21, a43
	global_store_dwordx4 v[14:15], v[2:5], off
	ds_read_b128 v[2:5], v0 offset:24480
	v_accvgpr_read_b32 v19, a41
	s_waitcnt lgkmcnt(1)
	v_mul_f64 v[10:11], v[20:21], v[8:9]
	v_fmac_f64_e32 v[10:11], v[18:19], v[6:7]
	v_mul_f64 v[6:7], v[20:21], v[6:7]
	v_fma_f64 v[6:7], v[18:19], v[8:9], -v[6:7]
	v_mad_u64_u32 v[14:15], s[6:7], s4, v16, v[14:15]
	v_mul_f64 v[10:11], v[10:11], s[0:1]
	v_mul_f64 v[12:13], v[6:7], s[0:1]
	v_add_u32_e32 v15, s2, v15
	global_store_dwordx4 v[14:15], v[10:13], off
	v_accvgpr_read_b32 v8, a44
	v_accvgpr_read_b32 v9, a45
	;; [unrolled: 1-line block ×4, first 2 shown]
	s_waitcnt lgkmcnt(0)
	v_mul_f64 v[6:7], v[10:11], v[4:5]
	v_fmac_f64_e32 v[6:7], v[8:9], v[2:3]
	v_mul_f64 v[2:3], v[10:11], v[2:3]
	v_fma_f64 v[2:3], v[8:9], v[4:5], -v[2:3]
	v_mul_f64 v[8:9], v[2:3], s[0:1]
	ds_read_b128 v[0:3], v0 offset:26112
	v_mad_u64_u32 v[10:11], s[6:7], s4, v16, v[14:15]
	v_mul_f64 v[6:7], v[6:7], s[0:1]
	v_add_u32_e32 v11, s2, v11
	global_store_dwordx4 v[10:11], v[6:9], off
	s_nop 1
	v_accvgpr_read_b32 v6, a52
	v_accvgpr_read_b32 v8, a54
	;; [unrolled: 1-line block ×4, first 2 shown]
	s_waitcnt lgkmcnt(0)
	v_mul_f64 v[4:5], v[8:9], v[2:3]
	v_fmac_f64_e32 v[4:5], v[6:7], v[0:1]
	v_mul_f64 v[0:1], v[8:9], v[0:1]
	v_fma_f64 v[0:1], v[6:7], v[2:3], -v[0:1]
	v_mul_f64 v[4:5], v[4:5], s[0:1]
	v_mul_f64 v[6:7], v[0:1], s[0:1]
	v_mad_u64_u32 v[0:1], s[0:1], s4, v16, v[10:11]
	v_add_u32_e32 v1, s2, v1
	global_store_dwordx4 v[0:1], v[4:7], off
.LBB0_10:
	s_endpgm
	.section	.rodata,"a",@progbits
	.p2align	6, 0x0
	.amdhsa_kernel bluestein_single_fwd_len1734_dim1_dp_op_CI_CI
		.amdhsa_group_segment_fixed_size 27744
		.amdhsa_private_segment_fixed_size 0
		.amdhsa_kernarg_size 104
		.amdhsa_user_sgpr_count 2
		.amdhsa_user_sgpr_dispatch_ptr 0
		.amdhsa_user_sgpr_queue_ptr 0
		.amdhsa_user_sgpr_kernarg_segment_ptr 1
		.amdhsa_user_sgpr_dispatch_id 0
		.amdhsa_user_sgpr_kernarg_preload_length 0
		.amdhsa_user_sgpr_kernarg_preload_offset 0
		.amdhsa_user_sgpr_private_segment_size 0
		.amdhsa_uses_dynamic_stack 0
		.amdhsa_enable_private_segment 0
		.amdhsa_system_sgpr_workgroup_id_x 1
		.amdhsa_system_sgpr_workgroup_id_y 0
		.amdhsa_system_sgpr_workgroup_id_z 0
		.amdhsa_system_sgpr_workgroup_info 0
		.amdhsa_system_vgpr_workitem_id 0
		.amdhsa_next_free_vgpr 336
		.amdhsa_next_free_sgpr 62
		.amdhsa_accum_offset 256
		.amdhsa_reserve_vcc 1
		.amdhsa_float_round_mode_32 0
		.amdhsa_float_round_mode_16_64 0
		.amdhsa_float_denorm_mode_32 3
		.amdhsa_float_denorm_mode_16_64 3
		.amdhsa_dx10_clamp 1
		.amdhsa_ieee_mode 1
		.amdhsa_fp16_overflow 0
		.amdhsa_tg_split 0
		.amdhsa_exception_fp_ieee_invalid_op 0
		.amdhsa_exception_fp_denorm_src 0
		.amdhsa_exception_fp_ieee_div_zero 0
		.amdhsa_exception_fp_ieee_overflow 0
		.amdhsa_exception_fp_ieee_underflow 0
		.amdhsa_exception_fp_ieee_inexact 0
		.amdhsa_exception_int_div_zero 0
	.end_amdhsa_kernel
	.text
.Lfunc_end0:
	.size	bluestein_single_fwd_len1734_dim1_dp_op_CI_CI, .Lfunc_end0-bluestein_single_fwd_len1734_dim1_dp_op_CI_CI
                                        ; -- End function
	.section	.AMDGPU.csdata,"",@progbits
; Kernel info:
; codeLenInByte = 33984
; NumSgprs: 68
; NumVgprs: 256
; NumAgprs: 80
; TotalNumVgprs: 336
; ScratchSize: 0
; MemoryBound: 0
; FloatMode: 240
; IeeeMode: 1
; LDSByteSize: 27744 bytes/workgroup (compile time only)
; SGPRBlocks: 8
; VGPRBlocks: 41
; NumSGPRsForWavesPerEU: 68
; NumVGPRsForWavesPerEU: 336
; AccumOffset: 256
; Occupancy: 1
; WaveLimiterHint : 1
; COMPUTE_PGM_RSRC2:SCRATCH_EN: 0
; COMPUTE_PGM_RSRC2:USER_SGPR: 2
; COMPUTE_PGM_RSRC2:TRAP_HANDLER: 0
; COMPUTE_PGM_RSRC2:TGID_X_EN: 1
; COMPUTE_PGM_RSRC2:TGID_Y_EN: 0
; COMPUTE_PGM_RSRC2:TGID_Z_EN: 0
; COMPUTE_PGM_RSRC2:TIDIG_COMP_CNT: 0
; COMPUTE_PGM_RSRC3_GFX90A:ACCUM_OFFSET: 63
; COMPUTE_PGM_RSRC3_GFX90A:TG_SPLIT: 0
	.text
	.p2alignl 6, 3212836864
	.fill 256, 4, 3212836864
	.type	__hip_cuid_15fc821ddb2a550b,@object ; @__hip_cuid_15fc821ddb2a550b
	.section	.bss,"aw",@nobits
	.globl	__hip_cuid_15fc821ddb2a550b
__hip_cuid_15fc821ddb2a550b:
	.byte	0                               ; 0x0
	.size	__hip_cuid_15fc821ddb2a550b, 1

	.ident	"AMD clang version 19.0.0git (https://github.com/RadeonOpenCompute/llvm-project roc-6.4.0 25133 c7fe45cf4b819c5991fe208aaa96edf142730f1d)"
	.section	".note.GNU-stack","",@progbits
	.addrsig
	.addrsig_sym __hip_cuid_15fc821ddb2a550b
	.amdgpu_metadata
---
amdhsa.kernels:
  - .agpr_count:     80
    .args:
      - .actual_access:  read_only
        .address_space:  global
        .offset:         0
        .size:           8
        .value_kind:     global_buffer
      - .actual_access:  read_only
        .address_space:  global
        .offset:         8
        .size:           8
        .value_kind:     global_buffer
      - .actual_access:  read_only
        .address_space:  global
        .offset:         16
        .size:           8
        .value_kind:     global_buffer
      - .actual_access:  read_only
        .address_space:  global
        .offset:         24
        .size:           8
        .value_kind:     global_buffer
      - .actual_access:  read_only
        .address_space:  global
        .offset:         32
        .size:           8
        .value_kind:     global_buffer
      - .offset:         40
        .size:           8
        .value_kind:     by_value
      - .address_space:  global
        .offset:         48
        .size:           8
        .value_kind:     global_buffer
      - .address_space:  global
        .offset:         56
        .size:           8
        .value_kind:     global_buffer
      - .address_space:  global
        .offset:         64
        .size:           8
        .value_kind:     global_buffer
      - .address_space:  global
        .offset:         72
        .size:           8
        .value_kind:     global_buffer
      - .offset:         80
        .size:           4
        .value_kind:     by_value
      - .address_space:  global
        .offset:         88
        .size:           8
        .value_kind:     global_buffer
      - .address_space:  global
        .offset:         96
        .size:           8
        .value_kind:     global_buffer
    .group_segment_fixed_size: 27744
    .kernarg_segment_align: 8
    .kernarg_segment_size: 104
    .language:       OpenCL C
    .language_version:
      - 2
      - 0
    .max_flat_workgroup_size: 102
    .name:           bluestein_single_fwd_len1734_dim1_dp_op_CI_CI
    .private_segment_fixed_size: 0
    .sgpr_count:     68
    .sgpr_spill_count: 0
    .symbol:         bluestein_single_fwd_len1734_dim1_dp_op_CI_CI.kd
    .uniform_work_group_size: 1
    .uses_dynamic_stack: false
    .vgpr_count:     336
    .vgpr_spill_count: 0
    .wavefront_size: 64
amdhsa.target:   amdgcn-amd-amdhsa--gfx950
amdhsa.version:
  - 1
  - 2
...

	.end_amdgpu_metadata
